;; amdgpu-corpus repo=vllm-project/vllm kind=compiled arch=gfx1250 opt=O3
	.amdgcn_target "amdgcn-amd-amdhsa--gfx1250"
	.amdhsa_code_object_version 6
	.section	.text._ZN4vllm23rotary_embedding_kernelIffLb1EEEvPKlPT_S4_PKT0_illliiilb,"axG",@progbits,_ZN4vllm23rotary_embedding_kernelIffLb1EEEvPKlPT_S4_PKT0_illliiilb,comdat
	.protected	_ZN4vllm23rotary_embedding_kernelIffLb1EEEvPKlPT_S4_PKT0_illliiilb ; -- Begin function _ZN4vllm23rotary_embedding_kernelIffLb1EEEvPKlPT_S4_PKT0_illliiilb
	.globl	_ZN4vllm23rotary_embedding_kernelIffLb1EEEvPKlPT_S4_PKT0_illliiilb
	.p2align	8
	.type	_ZN4vllm23rotary_embedding_kernelIffLb1EEEvPKlPT_S4_PKT0_illliiilb,@function
_ZN4vllm23rotary_embedding_kernelIffLb1EEEvPKlPT_S4_PKT0_illliiilb: ; @_ZN4vllm23rotary_embedding_kernelIffLb1EEEvPKlPT_S4_PKT0_illliiilb
; %bb.0:
	s_clause 0x2
	s_load_b96 s[16:18], s[0:1], 0x18
	s_load_b96 s[12:14], s[0:1], 0x50
	s_load_b64 s[2:3], s[0:1], 0x0
	s_getreg_b32 s6, hwreg(HW_REG_IB_STS2, 6, 4)
	s_mov_b32 s19, 0
	s_mov_b32 s23, exec_lo
	s_wait_kmcnt 0x0
	s_ashr_i32 s15, s18, 31
	s_bitcmp1_b32 s14, 0
	s_mov_b32 s14, s18
	s_cselect_b32 s22, -1, 0
	s_bfe_u32 s4, ttmp6, 0x4000c
	s_and_b32 s5, ttmp6, 15
	s_add_co_i32 s4, s4, 1
	s_delay_alu instid0(SALU_CYCLE_1) | instskip(NEXT) | instid1(SALU_CYCLE_1)
	s_mul_i32 s4, ttmp9, s4
	s_add_co_i32 s5, s5, s4
	s_cmp_eq_u32 s6, 0
	s_cselect_b32 s20, ttmp9, s5
	s_delay_alu instid0(SALU_CYCLE_1) | instskip(NEXT) | instid1(SALU_CYCLE_1)
	s_ashr_i32 s21, s20, 31
	s_lshl_b64 s[4:5], s[20:21], 3
	s_delay_alu instid0(SALU_CYCLE_1) | instskip(SKIP_4) | instid1(SALU_CYCLE_1)
	s_add_nc_u64 s[2:3], s[2:3], s[4:5]
	s_load_b64 s[24:25], s[2:3], 0x0
	s_load_b256 s[4:11], s[0:1], 0x28
	s_wait_xcnt 0x0
	s_lshr_b32 s2, s18, 31
	s_add_co_i32 s2, s18, s2
	s_delay_alu instid0(SALU_CYCLE_1) | instskip(NEXT) | instid1(SALU_CYCLE_1)
	s_ashr_i32 s2, s2, 1
	s_ashr_i32 s3, s2, 31
	s_wait_kmcnt 0x0
	s_mul_u64 s[14:15], s[24:25], s[14:15]
	s_mul_i32 s10, s10, s2
	s_lshl_b64 s[14:15], s[14:15], 2
	s_delay_alu instid0(SALU_CYCLE_1) | instskip(SKIP_1) | instid1(SALU_CYCLE_1)
	s_add_nc_u64 s[14:15], s[16:17], s[14:15]
	s_lshl_b64 s[16:17], s[2:3], 2
	s_add_nc_u64 s[16:17], s[14:15], s[16:17]
	v_cmpx_gt_i32_e64 s10, v0
	s_cbranch_execz .LBB0_3
; %bb.1:
	s_abs_i32 s24, s2
	s_load_b64 s[28:29], s[0:1], 0x8
	s_cvt_f32_u32 s18, s24
	s_mul_u64 s[4:5], s[4:5], s[20:21]
	v_mov_b32_e32 v3, 0
	s_lshl_b64 s[4:5], s[4:5], 2
	v_rcp_iflag_f32_e32 v1, s18
	s_load_b32 s18, s[0:1], 0x6c
	s_lshl_b64 s[30:31], s[12:13], 2
	s_ashr_i32 s25, s2, 31
	v_nop
	s_delay_alu instid0(TRANS32_DEP_1)
	v_readfirstlane_b32 s26, v1
	v_mov_b32_e32 v1, v0
	s_mul_f32 s27, s26, 0x4f7ffffe
	s_sub_co_i32 s26, 0, s2
	s_wait_kmcnt 0x0
	s_add_nc_u64 s[4:5], s[28:29], s[4:5]
	s_cvt_u32_f32 s33, s27
	s_sub_co_i32 s27, 0, s24
	s_add_nc_u64 s[4:5], s[4:5], s[30:31]
	s_delay_alu instid0(SALU_CYCLE_1)
	s_mul_i32 s28, s27, s33
	s_and_b32 s27, s18, 0xffff
	s_mul_hi_u32 s18, s33, s28
	s_mov_b32 s28, s19
	s_add_co_i32 s18, s33, s18
.LBB0_2:                                ; =>This Inner Loop Header: Depth=1
	v_sub_nc_u32_e32 v2, 0, v1
	s_delay_alu instid0(VALU_DEP_1) | instskip(NEXT) | instid1(VALU_DEP_1)
	v_max_i32_e32 v2, v1, v2
	v_mul_u64_e32 v[4:5], s[18:19], v[2:3]
	s_delay_alu instid0(VALU_DEP_1) | instskip(NEXT) | instid1(VALU_DEP_1)
	v_mul_lo_u32 v4, v5, s24
	v_dual_add_nc_u32 v6, 1, v5 :: v_dual_sub_nc_u32 v2, v2, v4
	s_delay_alu instid0(VALU_DEP_1) | instskip(NEXT) | instid1(VALU_DEP_2)
	v_cmp_le_u32_e32 vcc_lo, s24, v2
	v_dual_cndmask_b32 v5, v5, v6 :: v_dual_ashrrev_i32 v6, 31, v1
	v_subrev_nc_u32_e32 v4, s24, v2
	s_delay_alu instid0(VALU_DEP_1) | instskip(NEXT) | instid1(VALU_DEP_1)
	v_dual_cndmask_b32 v2, v2, v4, vcc_lo :: v_dual_add_nc_u32 v4, 1, v5
	v_cmp_le_u32_e32 vcc_lo, s24, v2
	s_delay_alu instid0(VALU_DEP_2) | instskip(NEXT) | instid1(VALU_DEP_1)
	v_dual_cndmask_b32 v2, v5, v4, vcc_lo :: v_dual_bitop2_b32 v6, s25, v6 bitop3:0x14
	v_xor_b32_e32 v2, v2, v6
	s_delay_alu instid0(VALU_DEP_1) | instskip(NEXT) | instid1(VALU_DEP_1)
	v_sub_nc_u32_e32 v4, v2, v6
	v_ashrrev_i32_e32 v5, 31, v4
	s_delay_alu instid0(VALU_DEP_1)
	v_mul_u64_e32 v[6:7], s[8:9], v[4:5]
	v_mad_u32 v4, s26, v4, v1
	v_add_nc_u32_e32 v1, s27, v1
	s_clause 0x1
	global_load_b32 v2, v4, s[14:15] scale_offset
	global_load_b32 v8, v4, s[16:17] scale_offset
	v_ashrrev_i32_e32 v5, 31, v4
	v_cmp_le_i32_e32 vcc_lo, s10, v1
	s_or_b32 s28, vcc_lo, s28
	v_lshl_add_u64 v[6:7], v[6:7], 2, s[4:5]
	s_delay_alu instid0(VALU_DEP_1) | instskip(SKIP_1) | instid1(VALU_DEP_1)
	v_lshl_add_u64 v[6:7], v[4:5], 2, v[6:7]
	s_wait_xcnt 0x0
	v_lshl_add_u64 v[4:5], s[2:3], 2, v[6:7]
	s_clause 0x1
	global_load_b32 v9, v[6:7], off
	global_load_b32 v10, v[4:5], off
	s_wait_loadcnt 0x2
	v_cndmask_b32_e64 v8, v8, -v8, s22
	s_wait_loadcnt 0x0
	s_delay_alu instid0(VALU_DEP_1) | instskip(NEXT) | instid1(VALU_DEP_1)
	v_dual_mul_f32 v11, v8, v10 :: v_dual_mul_f32 v10, v2, v10
	v_dual_fma_f32 v2, v2, v9, -v11 :: v_dual_fmac_f32 v10, v9, v8
	s_clause 0x1
	global_store_b32 v[6:7], v2, off
	global_store_b32 v[4:5], v10, off
	s_wait_xcnt 0x0
	s_and_not1_b32 exec_lo, exec_lo, s28
	s_cbranch_execnz .LBB0_2
.LBB0_3:
	s_or_b32 exec_lo, exec_lo, s23
	s_load_b64 s[4:5], s[0:1], 0x10
	s_wait_kmcnt 0x0
	s_cmp_lg_u64 s[4:5], 0
	s_cbranch_scc0 .LBB0_7
; %bb.4:
	s_mul_i32 s10, s11, s2
	s_mov_b32 s11, exec_lo
	v_cmpx_gt_i32_e64 s10, v0
	s_cbranch_execz .LBB0_7
; %bb.5:
	s_abs_i32 s11, s2
	s_load_b32 s0, s[0:1], 0x6c
	s_cvt_f32_u32 s18, s11
	s_lshl_b64 s[12:13], s[12:13], 2
	v_mov_b32_e32 v3, 0
	s_delay_alu instid0(SALU_CYCLE_1)
	v_rcp_iflag_f32_e32 v1, s18
	s_mul_u64 s[18:19], s[6:7], s[20:21]
	s_sub_co_i32 s21, 0, s11
	s_lshl_b64 s[18:19], s[18:19], 2
	s_ashr_i32 s6, s2, 31
	s_add_nc_u64 s[4:5], s[4:5], s[18:19]
	s_sub_co_i32 s7, 0, s2
	s_wait_xcnt 0x0
	v_nop
	v_readfirstlane_b32 s1, v1
	s_add_nc_u64 s[4:5], s[4:5], s[12:13]
	s_mul_f32 s20, s1, 0x4f7ffffe
	s_mov_b32 s1, 0
	s_wait_kmcnt 0x0
	s_and_b32 s12, s0, 0xffff
	s_cvt_u32_f32 s20, s20
	s_delay_alu instid0(SALU_CYCLE_3) | instskip(NEXT) | instid1(SALU_CYCLE_1)
	s_mul_i32 s21, s21, s20
	s_mul_hi_u32 s13, s20, s21
	s_delay_alu instid0(SALU_CYCLE_1)
	s_add_co_i32 s0, s20, s13
	s_mov_b32 s13, s1
.LBB0_6:                                ; =>This Inner Loop Header: Depth=1
	v_sub_nc_u32_e32 v1, 0, v0
	s_delay_alu instid0(VALU_DEP_1) | instskip(NEXT) | instid1(VALU_DEP_1)
	v_max_i32_e32 v2, v0, v1
	v_mul_u64_e32 v[4:5], s[0:1], v[2:3]
	s_delay_alu instid0(VALU_DEP_1) | instskip(SKIP_1) | instid1(VALU_DEP_2)
	v_mul_lo_u32 v1, v5, s11
	v_add_nc_u32_e32 v4, 1, v5
	v_sub_nc_u32_e32 v1, v2, v1
	s_delay_alu instid0(VALU_DEP_1) | instskip(NEXT) | instid1(VALU_DEP_3)
	v_cmp_le_u32_e32 vcc_lo, s11, v1
	v_cndmask_b32_e32 v4, v5, v4, vcc_lo
	v_ashrrev_i32_e32 v5, 31, v0
	v_subrev_nc_u32_e32 v2, s11, v1
	s_delay_alu instid0(VALU_DEP_1) | instskip(NEXT) | instid1(VALU_DEP_1)
	v_dual_cndmask_b32 v1, v1, v2 :: v_dual_add_nc_u32 v2, 1, v4
	v_cmp_le_u32_e32 vcc_lo, s11, v1
	s_delay_alu instid0(VALU_DEP_2) | instskip(NEXT) | instid1(VALU_DEP_1)
	v_dual_cndmask_b32 v1, v4, v2, vcc_lo :: v_dual_bitop2_b32 v5, s6, v5 bitop3:0x14
	v_xor_b32_e32 v1, v1, v5
	s_delay_alu instid0(VALU_DEP_1) | instskip(NEXT) | instid1(VALU_DEP_1)
	v_sub_nc_u32_e32 v4, v1, v5
	v_ashrrev_i32_e32 v5, 31, v4
	s_delay_alu instid0(VALU_DEP_1)
	v_mul_u64_e32 v[6:7], s[8:9], v[4:5]
	v_mad_u32 v4, s7, v4, v0
	s_clause 0x1
	global_load_b32 v1, v4, s[14:15] scale_offset
	global_load_b32 v2, v4, s[16:17] scale_offset
	v_lshl_add_u64 v[6:7], v[6:7], 2, s[4:5]
	s_wait_loadcnt 0x0
	v_dual_cndmask_b32 v2, v2, -v2, s22 :: v_dual_ashrrev_i32 v5, 31, v4
	s_delay_alu instid0(VALU_DEP_1) | instskip(SKIP_1) | instid1(VALU_DEP_1)
	v_lshl_add_u64 v[6:7], v[4:5], 2, v[6:7]
	s_wait_xcnt 0x0
	v_lshl_add_u64 v[4:5], s[2:3], 2, v[6:7]
	s_clause 0x1
	global_load_b32 v8, v[6:7], off
	global_load_b32 v9, v[4:5], off
	s_wait_loadcnt 0x0
	v_dual_add_nc_u32 v0, s12, v0 :: v_dual_mul_f32 v10, v2, v9
	v_mul_f32_e32 v9, v1, v9
	s_delay_alu instid0(VALU_DEP_2) | instskip(NEXT) | instid1(VALU_DEP_2)
	v_cmp_le_i32_e32 vcc_lo, s10, v0
	v_dual_fma_f32 v1, v1, v8, -v10 :: v_dual_fmac_f32 v9, v8, v2
	s_or_b32 s13, vcc_lo, s13
	s_clause 0x1
	global_store_b32 v[6:7], v1, off
	global_store_b32 v[4:5], v9, off
	s_wait_xcnt 0x0
	s_and_not1_b32 exec_lo, exec_lo, s13
	s_cbranch_execnz .LBB0_6
.LBB0_7:
	s_endpgm
	.section	.rodata,"a",@progbits
	.p2align	6, 0x0
	.amdhsa_kernel _ZN4vllm23rotary_embedding_kernelIffLb1EEEvPKlPT_S4_PKT0_illliiilb
		.amdhsa_group_segment_fixed_size 0
		.amdhsa_private_segment_fixed_size 0
		.amdhsa_kernarg_size 352
		.amdhsa_user_sgpr_count 2
		.amdhsa_user_sgpr_dispatch_ptr 0
		.amdhsa_user_sgpr_queue_ptr 0
		.amdhsa_user_sgpr_kernarg_segment_ptr 1
		.amdhsa_user_sgpr_dispatch_id 0
		.amdhsa_user_sgpr_kernarg_preload_length 0
		.amdhsa_user_sgpr_kernarg_preload_offset 0
		.amdhsa_user_sgpr_private_segment_size 0
		.amdhsa_wavefront_size32 1
		.amdhsa_uses_dynamic_stack 0
		.amdhsa_enable_private_segment 0
		.amdhsa_system_sgpr_workgroup_id_x 1
		.amdhsa_system_sgpr_workgroup_id_y 0
		.amdhsa_system_sgpr_workgroup_id_z 0
		.amdhsa_system_sgpr_workgroup_info 0
		.amdhsa_system_vgpr_workitem_id 0
		.amdhsa_next_free_vgpr 12
		.amdhsa_next_free_sgpr 34
		.amdhsa_named_barrier_count 0
		.amdhsa_reserve_vcc 1
		.amdhsa_float_round_mode_32 0
		.amdhsa_float_round_mode_16_64 0
		.amdhsa_float_denorm_mode_32 3
		.amdhsa_float_denorm_mode_16_64 3
		.amdhsa_fp16_overflow 0
		.amdhsa_memory_ordered 1
		.amdhsa_forward_progress 1
		.amdhsa_inst_pref_size 9
		.amdhsa_round_robin_scheduling 0
		.amdhsa_exception_fp_ieee_invalid_op 0
		.amdhsa_exception_fp_denorm_src 0
		.amdhsa_exception_fp_ieee_div_zero 0
		.amdhsa_exception_fp_ieee_overflow 0
		.amdhsa_exception_fp_ieee_underflow 0
		.amdhsa_exception_fp_ieee_inexact 0
		.amdhsa_exception_int_div_zero 0
	.end_amdhsa_kernel
	.section	.text._ZN4vllm23rotary_embedding_kernelIffLb1EEEvPKlPT_S4_PKT0_illliiilb,"axG",@progbits,_ZN4vllm23rotary_embedding_kernelIffLb1EEEvPKlPT_S4_PKT0_illliiilb,comdat
.Lfunc_end0:
	.size	_ZN4vllm23rotary_embedding_kernelIffLb1EEEvPKlPT_S4_PKT0_illliiilb, .Lfunc_end0-_ZN4vllm23rotary_embedding_kernelIffLb1EEEvPKlPT_S4_PKT0_illliiilb
                                        ; -- End function
	.set _ZN4vllm23rotary_embedding_kernelIffLb1EEEvPKlPT_S4_PKT0_illliiilb.num_vgpr, 12
	.set _ZN4vllm23rotary_embedding_kernelIffLb1EEEvPKlPT_S4_PKT0_illliiilb.num_agpr, 0
	.set _ZN4vllm23rotary_embedding_kernelIffLb1EEEvPKlPT_S4_PKT0_illliiilb.numbered_sgpr, 34
	.set _ZN4vllm23rotary_embedding_kernelIffLb1EEEvPKlPT_S4_PKT0_illliiilb.num_named_barrier, 0
	.set _ZN4vllm23rotary_embedding_kernelIffLb1EEEvPKlPT_S4_PKT0_illliiilb.private_seg_size, 0
	.set _ZN4vllm23rotary_embedding_kernelIffLb1EEEvPKlPT_S4_PKT0_illliiilb.uses_vcc, 1
	.set _ZN4vllm23rotary_embedding_kernelIffLb1EEEvPKlPT_S4_PKT0_illliiilb.uses_flat_scratch, 0
	.set _ZN4vllm23rotary_embedding_kernelIffLb1EEEvPKlPT_S4_PKT0_illliiilb.has_dyn_sized_stack, 0
	.set _ZN4vllm23rotary_embedding_kernelIffLb1EEEvPKlPT_S4_PKT0_illliiilb.has_recursion, 0
	.set _ZN4vllm23rotary_embedding_kernelIffLb1EEEvPKlPT_S4_PKT0_illliiilb.has_indirect_call, 0
	.section	.AMDGPU.csdata,"",@progbits
; Kernel info:
; codeLenInByte = 1116
; TotalNumSgprs: 36
; NumVgprs: 12
; ScratchSize: 0
; MemoryBound: 0
; FloatMode: 240
; IeeeMode: 1
; LDSByteSize: 0 bytes/workgroup (compile time only)
; SGPRBlocks: 0
; VGPRBlocks: 0
; NumSGPRsForWavesPerEU: 36
; NumVGPRsForWavesPerEU: 12
; NamedBarCnt: 0
; Occupancy: 16
; WaveLimiterHint : 1
; COMPUTE_PGM_RSRC2:SCRATCH_EN: 0
; COMPUTE_PGM_RSRC2:USER_SGPR: 2
; COMPUTE_PGM_RSRC2:TRAP_HANDLER: 0
; COMPUTE_PGM_RSRC2:TGID_X_EN: 1
; COMPUTE_PGM_RSRC2:TGID_Y_EN: 0
; COMPUTE_PGM_RSRC2:TGID_Z_EN: 0
; COMPUTE_PGM_RSRC2:TIDIG_COMP_CNT: 0
	.section	.text._ZN4vllm23rotary_embedding_kernelIffLb0EEEvPKlPT_S4_PKT0_illliiilb,"axG",@progbits,_ZN4vllm23rotary_embedding_kernelIffLb0EEEvPKlPT_S4_PKT0_illliiilb,comdat
	.protected	_ZN4vllm23rotary_embedding_kernelIffLb0EEEvPKlPT_S4_PKT0_illliiilb ; -- Begin function _ZN4vllm23rotary_embedding_kernelIffLb0EEEvPKlPT_S4_PKT0_illliiilb
	.globl	_ZN4vllm23rotary_embedding_kernelIffLb0EEEvPKlPT_S4_PKT0_illliiilb
	.p2align	8
	.type	_ZN4vllm23rotary_embedding_kernelIffLb0EEEvPKlPT_S4_PKT0_illliiilb,@function
_ZN4vllm23rotary_embedding_kernelIffLb0EEEvPKlPT_S4_PKT0_illliiilb: ; @_ZN4vllm23rotary_embedding_kernelIffLb0EEEvPKlPT_S4_PKT0_illliiilb
; %bb.0:
	s_clause 0x2
	s_load_b96 s[16:18], s[0:1], 0x18
	s_load_b96 s[12:14], s[0:1], 0x50
	s_load_b64 s[2:3], s[0:1], 0x0
	s_getreg_b32 s6, hwreg(HW_REG_IB_STS2, 6, 4)
	s_mov_b32 s19, 0
	s_mov_b32 s23, exec_lo
	s_wait_kmcnt 0x0
	s_ashr_i32 s15, s18, 31
	s_bitcmp1_b32 s14, 0
	s_mov_b32 s14, s18
	s_cselect_b32 s22, -1, 0
	s_bfe_u32 s4, ttmp6, 0x4000c
	s_and_b32 s5, ttmp6, 15
	s_add_co_i32 s4, s4, 1
	s_delay_alu instid0(SALU_CYCLE_1) | instskip(NEXT) | instid1(SALU_CYCLE_1)
	s_mul_i32 s4, ttmp9, s4
	s_add_co_i32 s5, s5, s4
	s_cmp_eq_u32 s6, 0
	s_cselect_b32 s20, ttmp9, s5
	s_delay_alu instid0(SALU_CYCLE_1) | instskip(NEXT) | instid1(SALU_CYCLE_1)
	s_ashr_i32 s21, s20, 31
	s_lshl_b64 s[4:5], s[20:21], 3
	s_delay_alu instid0(SALU_CYCLE_1) | instskip(SKIP_4) | instid1(SALU_CYCLE_1)
	s_add_nc_u64 s[2:3], s[2:3], s[4:5]
	s_load_b64 s[24:25], s[2:3], 0x0
	s_load_b256 s[4:11], s[0:1], 0x28
	s_wait_xcnt 0x0
	s_lshr_b32 s2, s18, 31
	s_add_co_i32 s2, s18, s2
	s_delay_alu instid0(SALU_CYCLE_1) | instskip(NEXT) | instid1(SALU_CYCLE_1)
	s_ashr_i32 s2, s2, 1
	s_ashr_i32 s3, s2, 31
	s_wait_kmcnt 0x0
	s_mul_u64 s[14:15], s[24:25], s[14:15]
	s_mul_i32 s10, s10, s2
	s_lshl_b64 s[14:15], s[14:15], 2
	s_delay_alu instid0(SALU_CYCLE_1) | instskip(SKIP_1) | instid1(SALU_CYCLE_1)
	s_add_nc_u64 s[14:15], s[16:17], s[14:15]
	s_lshl_b64 s[16:17], s[2:3], 2
	s_add_nc_u64 s[16:17], s[14:15], s[16:17]
	v_cmpx_gt_i32_e64 s10, v0
	s_cbranch_execz .LBB1_3
; %bb.1:
	s_abs_i32 s24, s2
	s_clause 0x1
	s_load_b64 s[28:29], s[0:1], 0x8
	s_load_b32 s27, s[0:1], 0x6c
	s_cvt_f32_u32 s18, s24
	s_mul_u64 s[4:5], s[4:5], s[20:21]
	s_sub_co_i32 s33, 0, s24
	s_lshl_b64 s[4:5], s[4:5], 2
	v_rcp_iflag_f32_e32 v1, s18
	v_mov_b32_e32 v4, v0
	s_lshl_b64 s[30:31], s[12:13], 2
	s_lshl_b32 s26, s2, 1
	s_sub_co_i32 s25, 0, s2
	s_sub_co_i32 s26, 0, s26
	v_mov_b32_e32 v3, 0
	v_readfirstlane_b32 s18, v1
	v_lshlrev_b32_e32 v1, 1, v0
	s_mul_f32 s18, s18, 0x4f7ffffe
	s_wait_kmcnt 0x0
	s_add_nc_u64 s[4:5], s[28:29], s[4:5]
	s_and_b32 s27, s27, 0xffff
	s_cvt_u32_f32 s18, s18
	s_add_nc_u64 s[4:5], s[4:5], s[30:31]
	s_lshl_b32 s28, s27, 1
	s_delay_alu instid0(SALU_CYCLE_1) | instskip(NEXT) | instid1(SALU_CYCLE_1)
	s_mul_i32 s33, s33, s18
	s_mul_hi_u32 s29, s18, s33
	s_delay_alu instid0(SALU_CYCLE_1)
	s_add_co_i32 s18, s18, s29
	s_mov_b32 s29, s19
.LBB1_2:                                ; =>This Inner Loop Header: Depth=1
	v_sub_nc_u32_e32 v2, 0, v4
	s_delay_alu instid0(VALU_DEP_1) | instskip(NEXT) | instid1(VALU_DEP_1)
	v_max_i32_e32 v2, v4, v2
	v_mul_u64_e32 v[6:7], s[18:19], v[2:3]
	s_delay_alu instid0(VALU_DEP_1) | instskip(NEXT) | instid1(VALU_DEP_1)
	v_mul_lo_u32 v5, v7, s24
	v_dual_add_nc_u32 v6, 1, v7 :: v_dual_sub_nc_u32 v2, v2, v5
	s_delay_alu instid0(VALU_DEP_1) | instskip(NEXT) | instid1(VALU_DEP_2)
	v_cmp_le_u32_e32 vcc_lo, s24, v2
	v_cndmask_b32_e32 v6, v7, v6, vcc_lo
	v_subrev_nc_u32_e32 v5, s24, v2
	s_delay_alu instid0(VALU_DEP_1) | instskip(NEXT) | instid1(VALU_DEP_3)
	v_dual_cndmask_b32 v2, v2, v5 :: v_dual_ashrrev_i32 v7, 31, v4
	v_add_nc_u32_e32 v5, 1, v6
	s_delay_alu instid0(VALU_DEP_2) | instskip(NEXT) | instid1(VALU_DEP_2)
	v_cmp_le_u32_e32 vcc_lo, s24, v2
	v_dual_cndmask_b32 v2, v6, v5, vcc_lo :: v_dual_bitop2_b32 v7, s3, v7 bitop3:0x14
	s_delay_alu instid0(VALU_DEP_1) | instskip(NEXT) | instid1(VALU_DEP_1)
	v_xor_b32_e32 v2, v2, v7
	v_sub_nc_u32_e32 v6, v2, v7
	s_delay_alu instid0(VALU_DEP_1) | instskip(NEXT) | instid1(VALU_DEP_1)
	v_mad_u32 v10, s26, v6, v1
	v_dual_add_nc_u32 v1, s28, v1 :: v_dual_ashrrev_i32 v11, 31, v10
	v_ashrrev_i32_e32 v7, 31, v6
	v_mad_u32 v5, s25, v6, v4
	v_add_nc_u32_e32 v4, s27, v4
	s_clause 0x1
	global_load_b32 v2, v5, s[14:15] scale_offset
	global_load_b32 v12, v5, s[16:17] scale_offset
	v_mul_u64_e32 v[8:9], s[8:9], v[6:7]
	v_cmp_le_i32_e32 vcc_lo, s10, v4
	s_or_b32 s29, vcc_lo, s29
	s_delay_alu instid0(VALU_DEP_2) | instskip(NEXT) | instid1(VALU_DEP_1)
	v_lshl_add_u64 v[6:7], v[8:9], 2, s[4:5]
	v_lshl_add_u64 v[6:7], v[10:11], 2, v[6:7]
	global_load_b64 v[8:9], v[6:7], off
	s_wait_loadcnt 0x1
	v_cndmask_b32_e64 v10, v12, -v12, s22
	s_wait_loadcnt 0x0
	s_delay_alu instid0(VALU_DEP_1) | instskip(NEXT) | instid1(VALU_DEP_1)
	v_pk_mul_f32 v[10:11], v[10:11], v[8:9] op_sel:[0,1] op_sel_hi:[0,0]
	v_pk_fma_f32 v[12:13], v[2:3], v[8:9], v[10:11] op_sel_hi:[0,1,1]
	v_pk_fma_f32 v[8:9], v[2:3], v[8:9], v[10:11] neg_lo:[0,0,1] neg_hi:[0,0,1]
	s_delay_alu instid0(VALU_DEP_2)
	v_mov_b32_e32 v9, v13
	global_store_b64 v[6:7], v[8:9], off
	s_wait_xcnt 0x0
	s_and_not1_b32 exec_lo, exec_lo, s29
	s_cbranch_execnz .LBB1_2
.LBB1_3:
	s_or_b32 exec_lo, exec_lo, s23
	s_load_b64 s[4:5], s[0:1], 0x10
	s_wait_kmcnt 0x0
	s_cmp_lg_u64 s[4:5], 0
	s_cbranch_scc0 .LBB1_7
; %bb.4:
	s_mul_i32 s10, s11, s2
	s_mov_b32 s11, exec_lo
	v_cmpx_gt_i32_e64 s10, v0
	s_cbranch_execz .LBB1_7
; %bb.5:
	s_abs_i32 s11, s2
	s_load_b32 s0, s[0:1], 0x6c
	s_cvt_f32_u32 s18, s11
	s_lshl_b64 s[12:13], s[12:13], 2
	s_wait_xcnt 0x0
	s_mov_b32 s1, 0
	v_mov_b32_e32 v3, 0
	v_rcp_iflag_f32_e32 v1, s18
	s_mul_u64 s[18:19], s[6:7], s[20:21]
	s_sub_co_i32 s20, 0, s11
	s_lshl_b64 s[18:19], s[18:19], 2
	s_sub_co_i32 s6, 0, s2
	s_lshl_b32 s2, s2, 1
	s_add_nc_u64 s[4:5], s[4:5], s[18:19]
	v_nop
	v_readfirstlane_b32 s7, v1
	v_lshlrev_b32_e32 v1, 1, v0
	s_sub_co_i32 s2, 0, s2
	s_add_nc_u64 s[4:5], s[4:5], s[12:13]
	s_mov_b32 s13, s1
	s_mul_f32 s7, s7, 0x4f7ffffe
	s_delay_alu instid0(SALU_CYCLE_3) | instskip(SKIP_2) | instid1(SALU_CYCLE_1)
	s_cvt_u32_f32 s21, s7
	s_wait_kmcnt 0x0
	s_and_b32 s7, s0, 0xffff
	s_lshl_b32 s12, s7, 1
	s_mul_i32 s20, s20, s21
	s_delay_alu instid0(SALU_CYCLE_1) | instskip(NEXT) | instid1(SALU_CYCLE_1)
	s_mul_hi_u32 s0, s21, s20
	s_add_co_i32 s0, s21, s0
.LBB1_6:                                ; =>This Inner Loop Header: Depth=1
	v_sub_nc_u32_e32 v2, 0, v0
	s_delay_alu instid0(VALU_DEP_1) | instskip(NEXT) | instid1(VALU_DEP_1)
	v_max_i32_e32 v2, v0, v2
	v_mul_u64_e32 v[4:5], s[0:1], v[2:3]
	s_delay_alu instid0(VALU_DEP_1) | instskip(NEXT) | instid1(VALU_DEP_1)
	v_mul_lo_u32 v4, v5, s11
	v_dual_add_nc_u32 v6, 1, v5 :: v_dual_sub_nc_u32 v2, v2, v4
	s_delay_alu instid0(VALU_DEP_1) | instskip(NEXT) | instid1(VALU_DEP_2)
	v_cmp_le_u32_e32 vcc_lo, s11, v2
	v_cndmask_b32_e32 v5, v5, v6, vcc_lo
	v_subrev_nc_u32_e32 v4, s11, v2
	v_ashrrev_i32_e32 v6, 31, v0
	s_delay_alu instid0(VALU_DEP_2) | instskip(NEXT) | instid1(VALU_DEP_1)
	v_dual_cndmask_b32 v2, v2, v4, vcc_lo :: v_dual_add_nc_u32 v4, 1, v5
	v_cmp_le_u32_e32 vcc_lo, s11, v2
	s_delay_alu instid0(VALU_DEP_2) | instskip(NEXT) | instid1(VALU_DEP_1)
	v_dual_cndmask_b32 v2, v5, v4, vcc_lo :: v_dual_bitop2_b32 v6, s3, v6 bitop3:0x14
	v_xor_b32_e32 v2, v2, v6
	s_delay_alu instid0(VALU_DEP_1) | instskip(NEXT) | instid1(VALU_DEP_1)
	v_sub_nc_u32_e32 v4, v2, v6
	v_mad_u32 v8, s2, v4, v1
	s_delay_alu instid0(VALU_DEP_1)
	v_dual_add_nc_u32 v1, s12, v1 :: v_dual_ashrrev_i32 v9, 31, v8
	v_ashrrev_i32_e32 v5, 31, v4
	v_mad_u32 v10, s6, v4, v0
	s_clause 0x1
	global_load_b32 v2, v10, s[14:15] scale_offset
	global_load_b32 v11, v10, s[16:17] scale_offset
	v_mul_u64_e32 v[6:7], s[8:9], v[4:5]
	v_add_nc_u32_e32 v0, s7, v0
	s_delay_alu instid0(VALU_DEP_1) | instskip(SKIP_1) | instid1(VALU_DEP_3)
	v_cmp_le_i32_e32 vcc_lo, s10, v0
	s_or_b32 s13, vcc_lo, s13
	v_lshl_add_u64 v[4:5], v[6:7], 2, s[4:5]
	s_delay_alu instid0(VALU_DEP_1) | instskip(SKIP_4) | instid1(VALU_DEP_1)
	v_lshl_add_u64 v[4:5], v[8:9], 2, v[4:5]
	global_load_b64 v[6:7], v[4:5], off
	s_wait_loadcnt 0x1
	v_cndmask_b32_e64 v8, v11, -v11, s22
	s_wait_loadcnt 0x0
	v_pk_mul_f32 v[8:9], v[8:9], v[6:7] op_sel:[0,1] op_sel_hi:[0,0]
	s_wait_xcnt 0x1
	s_delay_alu instid0(VALU_DEP_1) | instskip(SKIP_1) | instid1(VALU_DEP_2)
	v_pk_fma_f32 v[10:11], v[2:3], v[6:7], v[8:9] op_sel_hi:[0,1,1]
	v_pk_fma_f32 v[6:7], v[2:3], v[6:7], v[8:9] neg_lo:[0,0,1] neg_hi:[0,0,1]
	v_mov_b32_e32 v7, v11
	global_store_b64 v[4:5], v[6:7], off
	s_wait_xcnt 0x0
	s_and_not1_b32 exec_lo, exec_lo, s13
	s_cbranch_execnz .LBB1_6
.LBB1_7:
	s_endpgm
	.section	.rodata,"a",@progbits
	.p2align	6, 0x0
	.amdhsa_kernel _ZN4vllm23rotary_embedding_kernelIffLb0EEEvPKlPT_S4_PKT0_illliiilb
		.amdhsa_group_segment_fixed_size 0
		.amdhsa_private_segment_fixed_size 0
		.amdhsa_kernarg_size 352
		.amdhsa_user_sgpr_count 2
		.amdhsa_user_sgpr_dispatch_ptr 0
		.amdhsa_user_sgpr_queue_ptr 0
		.amdhsa_user_sgpr_kernarg_segment_ptr 1
		.amdhsa_user_sgpr_dispatch_id 0
		.amdhsa_user_sgpr_kernarg_preload_length 0
		.amdhsa_user_sgpr_kernarg_preload_offset 0
		.amdhsa_user_sgpr_private_segment_size 0
		.amdhsa_wavefront_size32 1
		.amdhsa_uses_dynamic_stack 0
		.amdhsa_enable_private_segment 0
		.amdhsa_system_sgpr_workgroup_id_x 1
		.amdhsa_system_sgpr_workgroup_id_y 0
		.amdhsa_system_sgpr_workgroup_id_z 0
		.amdhsa_system_sgpr_workgroup_info 0
		.amdhsa_system_vgpr_workitem_id 0
		.amdhsa_next_free_vgpr 14
		.amdhsa_next_free_sgpr 34
		.amdhsa_named_barrier_count 0
		.amdhsa_reserve_vcc 1
		.amdhsa_float_round_mode_32 0
		.amdhsa_float_round_mode_16_64 0
		.amdhsa_float_denorm_mode_32 3
		.amdhsa_float_denorm_mode_16_64 3
		.amdhsa_fp16_overflow 0
		.amdhsa_memory_ordered 1
		.amdhsa_forward_progress 1
		.amdhsa_inst_pref_size 9
		.amdhsa_round_robin_scheduling 0
		.amdhsa_exception_fp_ieee_invalid_op 0
		.amdhsa_exception_fp_denorm_src 0
		.amdhsa_exception_fp_ieee_div_zero 0
		.amdhsa_exception_fp_ieee_overflow 0
		.amdhsa_exception_fp_ieee_underflow 0
		.amdhsa_exception_fp_ieee_inexact 0
		.amdhsa_exception_int_div_zero 0
	.end_amdhsa_kernel
	.section	.text._ZN4vllm23rotary_embedding_kernelIffLb0EEEvPKlPT_S4_PKT0_illliiilb,"axG",@progbits,_ZN4vllm23rotary_embedding_kernelIffLb0EEEvPKlPT_S4_PKT0_illliiilb,comdat
.Lfunc_end1:
	.size	_ZN4vllm23rotary_embedding_kernelIffLb0EEEvPKlPT_S4_PKT0_illliiilb, .Lfunc_end1-_ZN4vllm23rotary_embedding_kernelIffLb0EEEvPKlPT_S4_PKT0_illliiilb
                                        ; -- End function
	.set _ZN4vllm23rotary_embedding_kernelIffLb0EEEvPKlPT_S4_PKT0_illliiilb.num_vgpr, 14
	.set _ZN4vllm23rotary_embedding_kernelIffLb0EEEvPKlPT_S4_PKT0_illliiilb.num_agpr, 0
	.set _ZN4vllm23rotary_embedding_kernelIffLb0EEEvPKlPT_S4_PKT0_illliiilb.numbered_sgpr, 34
	.set _ZN4vllm23rotary_embedding_kernelIffLb0EEEvPKlPT_S4_PKT0_illliiilb.num_named_barrier, 0
	.set _ZN4vllm23rotary_embedding_kernelIffLb0EEEvPKlPT_S4_PKT0_illliiilb.private_seg_size, 0
	.set _ZN4vllm23rotary_embedding_kernelIffLb0EEEvPKlPT_S4_PKT0_illliiilb.uses_vcc, 1
	.set _ZN4vllm23rotary_embedding_kernelIffLb0EEEvPKlPT_S4_PKT0_illliiilb.uses_flat_scratch, 0
	.set _ZN4vllm23rotary_embedding_kernelIffLb0EEEvPKlPT_S4_PKT0_illliiilb.has_dyn_sized_stack, 0
	.set _ZN4vllm23rotary_embedding_kernelIffLb0EEEvPKlPT_S4_PKT0_illliiilb.has_recursion, 0
	.set _ZN4vllm23rotary_embedding_kernelIffLb0EEEvPKlPT_S4_PKT0_illliiilb.has_indirect_call, 0
	.section	.AMDGPU.csdata,"",@progbits
; Kernel info:
; codeLenInByte = 1108
; TotalNumSgprs: 36
; NumVgprs: 14
; ScratchSize: 0
; MemoryBound: 0
; FloatMode: 240
; IeeeMode: 1
; LDSByteSize: 0 bytes/workgroup (compile time only)
; SGPRBlocks: 0
; VGPRBlocks: 0
; NumSGPRsForWavesPerEU: 36
; NumVGPRsForWavesPerEU: 14
; NamedBarCnt: 0
; Occupancy: 16
; WaveLimiterHint : 1
; COMPUTE_PGM_RSRC2:SCRATCH_EN: 0
; COMPUTE_PGM_RSRC2:USER_SGPR: 2
; COMPUTE_PGM_RSRC2:TRAP_HANDLER: 0
; COMPUTE_PGM_RSRC2:TGID_X_EN: 1
; COMPUTE_PGM_RSRC2:TGID_Y_EN: 0
; COMPUTE_PGM_RSRC2:TGID_Z_EN: 0
; COMPUTE_PGM_RSRC2:TIDIG_COMP_CNT: 0
	.section	.text._ZN4vllm23rotary_embedding_kernelIfN3c104HalfELb1EEEvPKlPT_S6_PKT0_illliiilb,"axG",@progbits,_ZN4vllm23rotary_embedding_kernelIfN3c104HalfELb1EEEvPKlPT_S6_PKT0_illliiilb,comdat
	.protected	_ZN4vllm23rotary_embedding_kernelIfN3c104HalfELb1EEEvPKlPT_S6_PKT0_illliiilb ; -- Begin function _ZN4vllm23rotary_embedding_kernelIfN3c104HalfELb1EEEvPKlPT_S6_PKT0_illliiilb
	.globl	_ZN4vllm23rotary_embedding_kernelIfN3c104HalfELb1EEEvPKlPT_S6_PKT0_illliiilb
	.p2align	8
	.type	_ZN4vllm23rotary_embedding_kernelIfN3c104HalfELb1EEEvPKlPT_S6_PKT0_illliiilb,@function
_ZN4vllm23rotary_embedding_kernelIfN3c104HalfELb1EEEvPKlPT_S6_PKT0_illliiilb: ; @_ZN4vllm23rotary_embedding_kernelIfN3c104HalfELb1EEEvPKlPT_S6_PKT0_illliiilb
; %bb.0:
	s_clause 0x2
	s_load_b96 s[16:18], s[0:1], 0x18
	s_load_b96 s[12:14], s[0:1], 0x50
	s_load_b64 s[2:3], s[0:1], 0x0
	s_getreg_b32 s6, hwreg(HW_REG_IB_STS2, 6, 4)
	s_mov_b32 s19, 0
	s_mov_b32 s23, exec_lo
	s_wait_kmcnt 0x0
	s_ashr_i32 s15, s18, 31
	s_bitcmp1_b32 s14, 0
	s_mov_b32 s14, s18
	s_cselect_b32 s22, -1, 0
	s_bfe_u32 s4, ttmp6, 0x4000c
	s_and_b32 s5, ttmp6, 15
	s_add_co_i32 s4, s4, 1
	s_delay_alu instid0(SALU_CYCLE_1) | instskip(NEXT) | instid1(SALU_CYCLE_1)
	s_mul_i32 s4, ttmp9, s4
	s_add_co_i32 s5, s5, s4
	s_cmp_eq_u32 s6, 0
	s_cselect_b32 s20, ttmp9, s5
	s_delay_alu instid0(SALU_CYCLE_1) | instskip(NEXT) | instid1(SALU_CYCLE_1)
	s_ashr_i32 s21, s20, 31
	s_lshl_b64 s[4:5], s[20:21], 3
	s_delay_alu instid0(SALU_CYCLE_1) | instskip(SKIP_4) | instid1(SALU_CYCLE_1)
	s_add_nc_u64 s[2:3], s[2:3], s[4:5]
	s_load_b64 s[24:25], s[2:3], 0x0
	s_load_b256 s[4:11], s[0:1], 0x28
	s_wait_xcnt 0x0
	s_lshr_b32 s2, s18, 31
	s_add_co_i32 s2, s18, s2
	s_delay_alu instid0(SALU_CYCLE_1) | instskip(NEXT) | instid1(SALU_CYCLE_1)
	s_ashr_i32 s2, s2, 1
	s_ashr_i32 s3, s2, 31
	s_wait_kmcnt 0x0
	s_mul_u64 s[14:15], s[24:25], s[14:15]
	s_mul_i32 s10, s10, s2
	s_lshl_b64 s[14:15], s[14:15], 1
	s_delay_alu instid0(SALU_CYCLE_1) | instskip(SKIP_1) | instid1(SALU_CYCLE_1)
	s_add_nc_u64 s[14:15], s[16:17], s[14:15]
	s_lshl_b64 s[16:17], s[2:3], 1
	s_add_nc_u64 s[16:17], s[14:15], s[16:17]
	v_cmpx_gt_i32_e64 s10, v0
	s_cbranch_execz .LBB2_3
; %bb.1:
	s_abs_i32 s24, s2
	s_load_b64 s[28:29], s[0:1], 0x8
	s_cvt_f32_u32 s18, s24
	s_mul_u64 s[4:5], s[4:5], s[20:21]
	v_mov_b32_e32 v3, 0
	s_lshl_b64 s[4:5], s[4:5], 2
	v_rcp_iflag_f32_e32 v1, s18
	s_load_b32 s18, s[0:1], 0x6c
	s_lshl_b64 s[30:31], s[12:13], 2
	s_ashr_i32 s25, s2, 31
	v_nop
	s_delay_alu instid0(TRANS32_DEP_1)
	v_readfirstlane_b32 s26, v1
	v_mov_b32_e32 v1, v0
	s_mul_f32 s27, s26, 0x4f7ffffe
	s_sub_co_i32 s26, 0, s2
	s_wait_kmcnt 0x0
	s_add_nc_u64 s[4:5], s[28:29], s[4:5]
	s_cvt_u32_f32 s33, s27
	s_sub_co_i32 s27, 0, s24
	s_add_nc_u64 s[4:5], s[4:5], s[30:31]
	s_delay_alu instid0(SALU_CYCLE_1)
	s_mul_i32 s28, s27, s33
	s_and_b32 s27, s18, 0xffff
	s_mul_hi_u32 s18, s33, s28
	s_mov_b32 s28, s19
	s_add_co_i32 s18, s33, s18
.LBB2_2:                                ; =>This Inner Loop Header: Depth=1
	v_sub_nc_u32_e32 v2, 0, v1
	s_delay_alu instid0(VALU_DEP_1) | instskip(NEXT) | instid1(VALU_DEP_1)
	v_max_i32_e32 v2, v1, v2
	v_mul_u64_e32 v[4:5], s[18:19], v[2:3]
	s_delay_alu instid0(VALU_DEP_1) | instskip(NEXT) | instid1(VALU_DEP_1)
	v_mul_lo_u32 v4, v5, s24
	v_dual_add_nc_u32 v6, 1, v5 :: v_dual_sub_nc_u32 v2, v2, v4
	s_delay_alu instid0(VALU_DEP_1) | instskip(NEXT) | instid1(VALU_DEP_2)
	v_cmp_le_u32_e32 vcc_lo, s24, v2
	v_dual_cndmask_b32 v5, v5, v6 :: v_dual_ashrrev_i32 v6, 31, v1
	v_subrev_nc_u32_e32 v4, s24, v2
	s_delay_alu instid0(VALU_DEP_1) | instskip(NEXT) | instid1(VALU_DEP_1)
	v_dual_cndmask_b32 v2, v2, v4, vcc_lo :: v_dual_add_nc_u32 v4, 1, v5
	v_cmp_le_u32_e32 vcc_lo, s24, v2
	s_delay_alu instid0(VALU_DEP_2) | instskip(NEXT) | instid1(VALU_DEP_1)
	v_dual_cndmask_b32 v2, v5, v4, vcc_lo :: v_dual_bitop2_b32 v6, s25, v6 bitop3:0x14
	v_xor_b32_e32 v2, v2, v6
	s_delay_alu instid0(VALU_DEP_1) | instskip(NEXT) | instid1(VALU_DEP_1)
	v_sub_nc_u32_e32 v4, v2, v6
	v_ashrrev_i32_e32 v5, 31, v4
	s_delay_alu instid0(VALU_DEP_1)
	v_mul_u64_e32 v[6:7], s[8:9], v[4:5]
	v_mad_u32 v4, s26, v4, v1
	s_clause 0x1
	global_load_u16 v2, v4, s[14:15] scale_offset
	global_load_u16 v8, v4, s[16:17] scale_offset
	v_dual_ashrrev_i32 v5, 31, v4 :: v_dual_add_nc_u32 v1, s27, v1
	s_delay_alu instid0(VALU_DEP_1) | instskip(SKIP_3) | instid1(VALU_DEP_1)
	v_cmp_le_i32_e32 vcc_lo, s10, v1
	s_or_b32 s28, vcc_lo, s28
	v_lshl_add_u64 v[6:7], v[6:7], 2, s[4:5]
	s_wait_xcnt 0x0
	v_lshl_add_u64 v[4:5], v[4:5], 2, v[6:7]
	s_delay_alu instid0(VALU_DEP_1)
	v_lshl_add_u64 v[6:7], s[2:3], 2, v[4:5]
	s_clause 0x1
	global_load_b32 v9, v[4:5], off
	global_load_b32 v10, v[6:7], off
	s_wait_loadcnt 0x2
	v_cvt_f32_f16_e32 v8, v8
	s_delay_alu instid0(VALU_DEP_1) | instskip(SKIP_1) | instid1(VALU_DEP_1)
	v_cndmask_b32_e64 v8, v8, -v8, s22
	s_wait_loadcnt 0x0
	v_dual_mul_f32 v11, v9, v8 :: v_dual_mul_f32 v8, v10, v8
	s_delay_alu instid0(VALU_DEP_1) | instskip(NEXT) | instid1(VALU_DEP_2)
	v_fma_mix_f32 v10, v10, v2, v11 op_sel_hi:[0,1,0]
	v_fma_mix_f32 v2, v9, v2, -v8 op_sel_hi:[0,1,0]
	s_clause 0x1
	global_store_b32 v[4:5], v2, off
	global_store_b32 v[6:7], v10, off
	s_wait_xcnt 0x0
	s_and_not1_b32 exec_lo, exec_lo, s28
	s_cbranch_execnz .LBB2_2
.LBB2_3:
	s_or_b32 exec_lo, exec_lo, s23
	s_load_b64 s[4:5], s[0:1], 0x10
	s_wait_kmcnt 0x0
	s_cmp_lg_u64 s[4:5], 0
	s_cbranch_scc0 .LBB2_7
; %bb.4:
	s_mul_i32 s10, s11, s2
	s_mov_b32 s11, exec_lo
	v_cmpx_gt_i32_e64 s10, v0
	s_cbranch_execz .LBB2_7
; %bb.5:
	s_abs_i32 s11, s2
	s_load_b32 s0, s[0:1], 0x6c
	s_cvt_f32_u32 s18, s11
	s_lshl_b64 s[12:13], s[12:13], 2
	v_mov_b32_e32 v3, 0
	s_delay_alu instid0(SALU_CYCLE_1)
	v_rcp_iflag_f32_e32 v1, s18
	s_mul_u64 s[18:19], s[6:7], s[20:21]
	s_sub_co_i32 s21, 0, s11
	s_lshl_b64 s[18:19], s[18:19], 2
	s_ashr_i32 s6, s2, 31
	s_add_nc_u64 s[4:5], s[4:5], s[18:19]
	s_sub_co_i32 s7, 0, s2
	s_wait_xcnt 0x0
	v_nop
	v_readfirstlane_b32 s1, v1
	s_add_nc_u64 s[4:5], s[4:5], s[12:13]
	s_mul_f32 s20, s1, 0x4f7ffffe
	s_mov_b32 s1, 0
	s_wait_kmcnt 0x0
	s_and_b32 s12, s0, 0xffff
	s_cvt_u32_f32 s20, s20
	s_delay_alu instid0(SALU_CYCLE_3) | instskip(NEXT) | instid1(SALU_CYCLE_1)
	s_mul_i32 s21, s21, s20
	s_mul_hi_u32 s13, s20, s21
	s_delay_alu instid0(SALU_CYCLE_1)
	s_add_co_i32 s0, s20, s13
	s_mov_b32 s13, s1
.LBB2_6:                                ; =>This Inner Loop Header: Depth=1
	v_sub_nc_u32_e32 v1, 0, v0
	s_delay_alu instid0(VALU_DEP_1) | instskip(NEXT) | instid1(VALU_DEP_1)
	v_max_i32_e32 v2, v0, v1
	v_mul_u64_e32 v[4:5], s[0:1], v[2:3]
	s_delay_alu instid0(VALU_DEP_1) | instskip(SKIP_1) | instid1(VALU_DEP_2)
	v_mul_lo_u32 v1, v5, s11
	v_add_nc_u32_e32 v4, 1, v5
	v_sub_nc_u32_e32 v1, v2, v1
	s_delay_alu instid0(VALU_DEP_1) | instskip(NEXT) | instid1(VALU_DEP_3)
	v_cmp_le_u32_e32 vcc_lo, s11, v1
	v_cndmask_b32_e32 v4, v5, v4, vcc_lo
	v_ashrrev_i32_e32 v5, 31, v0
	v_subrev_nc_u32_e32 v2, s11, v1
	s_delay_alu instid0(VALU_DEP_1) | instskip(NEXT) | instid1(VALU_DEP_1)
	v_dual_cndmask_b32 v1, v1, v2 :: v_dual_add_nc_u32 v2, 1, v4
	v_cmp_le_u32_e32 vcc_lo, s11, v1
	s_delay_alu instid0(VALU_DEP_2) | instskip(NEXT) | instid1(VALU_DEP_1)
	v_dual_cndmask_b32 v1, v4, v2, vcc_lo :: v_dual_bitop2_b32 v5, s6, v5 bitop3:0x14
	v_xor_b32_e32 v1, v1, v5
	s_delay_alu instid0(VALU_DEP_1) | instskip(NEXT) | instid1(VALU_DEP_1)
	v_sub_nc_u32_e32 v4, v1, v5
	v_ashrrev_i32_e32 v5, 31, v4
	s_delay_alu instid0(VALU_DEP_1)
	v_mul_u64_e32 v[6:7], s[8:9], v[4:5]
	v_mad_u32 v4, s7, v4, v0
	s_clause 0x1
	global_load_u16 v1, v4, s[14:15] scale_offset
	global_load_u16 v2, v4, s[16:17] scale_offset
	v_lshl_add_u64 v[6:7], v[6:7], 2, s[4:5]
	s_wait_loadcnt 0x0
	v_cvt_f32_f16_e32 v2, v2
	s_delay_alu instid0(VALU_DEP_1) | instskip(SKIP_1) | instid1(VALU_DEP_1)
	v_dual_cndmask_b32 v2, v2, -v2, s22 :: v_dual_ashrrev_i32 v5, 31, v4
	s_wait_xcnt 0x0
	v_lshl_add_u64 v[4:5], v[4:5], 2, v[6:7]
	s_delay_alu instid0(VALU_DEP_1)
	v_lshl_add_u64 v[6:7], s[2:3], 2, v[4:5]
	s_clause 0x1
	global_load_b32 v8, v[4:5], off
	global_load_b32 v9, v[6:7], off
	s_wait_loadcnt 0x1
	v_dual_add_nc_u32 v0, s12, v0 :: v_dual_mul_f32 v10, v8, v2
	s_wait_loadcnt 0x0
	v_mul_f32_e32 v2, v9, v2
	s_delay_alu instid0(VALU_DEP_2) | instskip(NEXT) | instid1(VALU_DEP_3)
	v_cmp_le_i32_e32 vcc_lo, s10, v0
	v_fma_mix_f32 v9, v9, v1, v10 op_sel_hi:[0,1,0]
	s_delay_alu instid0(VALU_DEP_3)
	v_fma_mix_f32 v1, v8, v1, -v2 op_sel_hi:[0,1,0]
	s_or_b32 s13, vcc_lo, s13
	s_clause 0x1
	global_store_b32 v[4:5], v1, off
	global_store_b32 v[6:7], v9, off
	s_wait_xcnt 0x0
	s_and_not1_b32 exec_lo, exec_lo, s13
	s_cbranch_execnz .LBB2_6
.LBB2_7:
	s_endpgm
	.section	.rodata,"a",@progbits
	.p2align	6, 0x0
	.amdhsa_kernel _ZN4vllm23rotary_embedding_kernelIfN3c104HalfELb1EEEvPKlPT_S6_PKT0_illliiilb
		.amdhsa_group_segment_fixed_size 0
		.amdhsa_private_segment_fixed_size 0
		.amdhsa_kernarg_size 352
		.amdhsa_user_sgpr_count 2
		.amdhsa_user_sgpr_dispatch_ptr 0
		.amdhsa_user_sgpr_queue_ptr 0
		.amdhsa_user_sgpr_kernarg_segment_ptr 1
		.amdhsa_user_sgpr_dispatch_id 0
		.amdhsa_user_sgpr_kernarg_preload_length 0
		.amdhsa_user_sgpr_kernarg_preload_offset 0
		.amdhsa_user_sgpr_private_segment_size 0
		.amdhsa_wavefront_size32 1
		.amdhsa_uses_dynamic_stack 0
		.amdhsa_enable_private_segment 0
		.amdhsa_system_sgpr_workgroup_id_x 1
		.amdhsa_system_sgpr_workgroup_id_y 0
		.amdhsa_system_sgpr_workgroup_id_z 0
		.amdhsa_system_sgpr_workgroup_info 0
		.amdhsa_system_vgpr_workitem_id 0
		.amdhsa_next_free_vgpr 12
		.amdhsa_next_free_sgpr 34
		.amdhsa_named_barrier_count 0
		.amdhsa_reserve_vcc 1
		.amdhsa_float_round_mode_32 0
		.amdhsa_float_round_mode_16_64 0
		.amdhsa_float_denorm_mode_32 3
		.amdhsa_float_denorm_mode_16_64 3
		.amdhsa_fp16_overflow 0
		.amdhsa_memory_ordered 1
		.amdhsa_forward_progress 1
		.amdhsa_inst_pref_size 10
		.amdhsa_round_robin_scheduling 0
		.amdhsa_exception_fp_ieee_invalid_op 0
		.amdhsa_exception_fp_denorm_src 0
		.amdhsa_exception_fp_ieee_div_zero 0
		.amdhsa_exception_fp_ieee_overflow 0
		.amdhsa_exception_fp_ieee_underflow 0
		.amdhsa_exception_fp_ieee_inexact 0
		.amdhsa_exception_int_div_zero 0
	.end_amdhsa_kernel
	.section	.text._ZN4vllm23rotary_embedding_kernelIfN3c104HalfELb1EEEvPKlPT_S6_PKT0_illliiilb,"axG",@progbits,_ZN4vllm23rotary_embedding_kernelIfN3c104HalfELb1EEEvPKlPT_S6_PKT0_illliiilb,comdat
.Lfunc_end2:
	.size	_ZN4vllm23rotary_embedding_kernelIfN3c104HalfELb1EEEvPKlPT_S6_PKT0_illliiilb, .Lfunc_end2-_ZN4vllm23rotary_embedding_kernelIfN3c104HalfELb1EEEvPKlPT_S6_PKT0_illliiilb
                                        ; -- End function
	.set _ZN4vllm23rotary_embedding_kernelIfN3c104HalfELb1EEEvPKlPT_S6_PKT0_illliiilb.num_vgpr, 12
	.set _ZN4vllm23rotary_embedding_kernelIfN3c104HalfELb1EEEvPKlPT_S6_PKT0_illliiilb.num_agpr, 0
	.set _ZN4vllm23rotary_embedding_kernelIfN3c104HalfELb1EEEvPKlPT_S6_PKT0_illliiilb.numbered_sgpr, 34
	.set _ZN4vllm23rotary_embedding_kernelIfN3c104HalfELb1EEEvPKlPT_S6_PKT0_illliiilb.num_named_barrier, 0
	.set _ZN4vllm23rotary_embedding_kernelIfN3c104HalfELb1EEEvPKlPT_S6_PKT0_illliiilb.private_seg_size, 0
	.set _ZN4vllm23rotary_embedding_kernelIfN3c104HalfELb1EEEvPKlPT_S6_PKT0_illliiilb.uses_vcc, 1
	.set _ZN4vllm23rotary_embedding_kernelIfN3c104HalfELb1EEEvPKlPT_S6_PKT0_illliiilb.uses_flat_scratch, 0
	.set _ZN4vllm23rotary_embedding_kernelIfN3c104HalfELb1EEEvPKlPT_S6_PKT0_illliiilb.has_dyn_sized_stack, 0
	.set _ZN4vllm23rotary_embedding_kernelIfN3c104HalfELb1EEEvPKlPT_S6_PKT0_illliiilb.has_recursion, 0
	.set _ZN4vllm23rotary_embedding_kernelIfN3c104HalfELb1EEEvPKlPT_S6_PKT0_illliiilb.has_indirect_call, 0
	.section	.AMDGPU.csdata,"",@progbits
; Kernel info:
; codeLenInByte = 1156
; TotalNumSgprs: 36
; NumVgprs: 12
; ScratchSize: 0
; MemoryBound: 0
; FloatMode: 240
; IeeeMode: 1
; LDSByteSize: 0 bytes/workgroup (compile time only)
; SGPRBlocks: 0
; VGPRBlocks: 0
; NumSGPRsForWavesPerEU: 36
; NumVGPRsForWavesPerEU: 12
; NamedBarCnt: 0
; Occupancy: 16
; WaveLimiterHint : 1
; COMPUTE_PGM_RSRC2:SCRATCH_EN: 0
; COMPUTE_PGM_RSRC2:USER_SGPR: 2
; COMPUTE_PGM_RSRC2:TRAP_HANDLER: 0
; COMPUTE_PGM_RSRC2:TGID_X_EN: 1
; COMPUTE_PGM_RSRC2:TGID_Y_EN: 0
; COMPUTE_PGM_RSRC2:TGID_Z_EN: 0
; COMPUTE_PGM_RSRC2:TIDIG_COMP_CNT: 0
	.section	.text._ZN4vllm23rotary_embedding_kernelIfN3c104HalfELb0EEEvPKlPT_S6_PKT0_illliiilb,"axG",@progbits,_ZN4vllm23rotary_embedding_kernelIfN3c104HalfELb0EEEvPKlPT_S6_PKT0_illliiilb,comdat
	.protected	_ZN4vllm23rotary_embedding_kernelIfN3c104HalfELb0EEEvPKlPT_S6_PKT0_illliiilb ; -- Begin function _ZN4vllm23rotary_embedding_kernelIfN3c104HalfELb0EEEvPKlPT_S6_PKT0_illliiilb
	.globl	_ZN4vllm23rotary_embedding_kernelIfN3c104HalfELb0EEEvPKlPT_S6_PKT0_illliiilb
	.p2align	8
	.type	_ZN4vllm23rotary_embedding_kernelIfN3c104HalfELb0EEEvPKlPT_S6_PKT0_illliiilb,@function
_ZN4vllm23rotary_embedding_kernelIfN3c104HalfELb0EEEvPKlPT_S6_PKT0_illliiilb: ; @_ZN4vllm23rotary_embedding_kernelIfN3c104HalfELb0EEEvPKlPT_S6_PKT0_illliiilb
; %bb.0:
	s_clause 0x2
	s_load_b96 s[16:18], s[0:1], 0x18
	s_load_b96 s[12:14], s[0:1], 0x50
	s_load_b64 s[2:3], s[0:1], 0x0
	s_getreg_b32 s6, hwreg(HW_REG_IB_STS2, 6, 4)
	s_mov_b32 s19, 0
	s_mov_b32 s23, exec_lo
	s_wait_kmcnt 0x0
	s_ashr_i32 s15, s18, 31
	s_bitcmp1_b32 s14, 0
	s_mov_b32 s14, s18
	s_cselect_b32 s22, -1, 0
	s_bfe_u32 s4, ttmp6, 0x4000c
	s_and_b32 s5, ttmp6, 15
	s_add_co_i32 s4, s4, 1
	s_delay_alu instid0(SALU_CYCLE_1) | instskip(NEXT) | instid1(SALU_CYCLE_1)
	s_mul_i32 s4, ttmp9, s4
	s_add_co_i32 s5, s5, s4
	s_cmp_eq_u32 s6, 0
	s_cselect_b32 s20, ttmp9, s5
	s_delay_alu instid0(SALU_CYCLE_1) | instskip(NEXT) | instid1(SALU_CYCLE_1)
	s_ashr_i32 s21, s20, 31
	s_lshl_b64 s[4:5], s[20:21], 3
	s_delay_alu instid0(SALU_CYCLE_1) | instskip(SKIP_4) | instid1(SALU_CYCLE_1)
	s_add_nc_u64 s[2:3], s[2:3], s[4:5]
	s_load_b64 s[24:25], s[2:3], 0x0
	s_load_b256 s[4:11], s[0:1], 0x28
	s_wait_xcnt 0x0
	s_lshr_b32 s2, s18, 31
	s_add_co_i32 s2, s18, s2
	s_delay_alu instid0(SALU_CYCLE_1) | instskip(NEXT) | instid1(SALU_CYCLE_1)
	s_ashr_i32 s2, s2, 1
	s_ashr_i32 s3, s2, 31
	s_wait_kmcnt 0x0
	s_mul_u64 s[14:15], s[24:25], s[14:15]
	s_mul_i32 s10, s10, s2
	s_lshl_b64 s[14:15], s[14:15], 1
	s_delay_alu instid0(SALU_CYCLE_1) | instskip(SKIP_1) | instid1(SALU_CYCLE_1)
	s_add_nc_u64 s[14:15], s[16:17], s[14:15]
	s_lshl_b64 s[16:17], s[2:3], 1
	s_add_nc_u64 s[16:17], s[14:15], s[16:17]
	v_cmpx_gt_i32_e64 s10, v0
	s_cbranch_execz .LBB3_3
; %bb.1:
	s_abs_i32 s24, s2
	s_clause 0x1
	s_load_b64 s[28:29], s[0:1], 0x8
	s_load_b32 s27, s[0:1], 0x6c
	s_cvt_f32_u32 s18, s24
	s_mul_u64 s[4:5], s[4:5], s[20:21]
	s_sub_co_i32 s33, 0, s24
	s_lshl_b64 s[4:5], s[4:5], 2
	v_rcp_iflag_f32_e32 v1, s18
	v_mov_b32_e32 v4, v0
	s_lshl_b64 s[30:31], s[12:13], 2
	s_lshl_b32 s26, s2, 1
	s_sub_co_i32 s25, 0, s2
	s_sub_co_i32 s26, 0, s26
	v_mov_b32_e32 v3, 0
	v_readfirstlane_b32 s18, v1
	v_lshlrev_b32_e32 v1, 1, v0
	s_mul_f32 s18, s18, 0x4f7ffffe
	s_wait_kmcnt 0x0
	s_add_nc_u64 s[4:5], s[28:29], s[4:5]
	s_and_b32 s27, s27, 0xffff
	s_cvt_u32_f32 s18, s18
	s_add_nc_u64 s[4:5], s[4:5], s[30:31]
	s_lshl_b32 s28, s27, 1
	s_delay_alu instid0(SALU_CYCLE_1) | instskip(NEXT) | instid1(SALU_CYCLE_1)
	s_mul_i32 s33, s33, s18
	s_mul_hi_u32 s29, s18, s33
	s_delay_alu instid0(SALU_CYCLE_1)
	s_add_co_i32 s18, s18, s29
	s_mov_b32 s29, s19
.LBB3_2:                                ; =>This Inner Loop Header: Depth=1
	v_sub_nc_u32_e32 v2, 0, v4
	s_delay_alu instid0(VALU_DEP_1) | instskip(NEXT) | instid1(VALU_DEP_1)
	v_max_i32_e32 v2, v4, v2
	v_mul_u64_e32 v[6:7], s[18:19], v[2:3]
	s_delay_alu instid0(VALU_DEP_1) | instskip(NEXT) | instid1(VALU_DEP_1)
	v_mul_lo_u32 v5, v7, s24
	v_dual_add_nc_u32 v6, 1, v7 :: v_dual_sub_nc_u32 v2, v2, v5
	s_delay_alu instid0(VALU_DEP_1) | instskip(NEXT) | instid1(VALU_DEP_2)
	v_cmp_le_u32_e32 vcc_lo, s24, v2
	v_cndmask_b32_e32 v6, v7, v6, vcc_lo
	v_subrev_nc_u32_e32 v5, s24, v2
	s_delay_alu instid0(VALU_DEP_1) | instskip(NEXT) | instid1(VALU_DEP_3)
	v_dual_cndmask_b32 v2, v2, v5 :: v_dual_ashrrev_i32 v7, 31, v4
	v_add_nc_u32_e32 v5, 1, v6
	s_delay_alu instid0(VALU_DEP_2) | instskip(NEXT) | instid1(VALU_DEP_2)
	v_cmp_le_u32_e32 vcc_lo, s24, v2
	v_dual_cndmask_b32 v2, v6, v5, vcc_lo :: v_dual_bitop2_b32 v7, s3, v7 bitop3:0x14
	s_delay_alu instid0(VALU_DEP_1) | instskip(NEXT) | instid1(VALU_DEP_1)
	v_xor_b32_e32 v2, v2, v7
	v_sub_nc_u32_e32 v6, v2, v7
	s_delay_alu instid0(VALU_DEP_1) | instskip(SKIP_4) | instid1(VALU_DEP_1)
	v_mad_u32 v2, s25, v6, v4
	s_clause 0x1
	global_load_u16 v5, v2, s[14:15] scale_offset
	global_load_u16 v10, v2, s[16:17] scale_offset
	v_add_nc_u32_e32 v4, s27, v4
	v_cmp_le_i32_e32 vcc_lo, s10, v4
	s_or_b32 s29, vcc_lo, s29
	s_wait_loadcnt 0x0
	s_wait_xcnt 0x0
	v_cvt_f32_f16_e32 v2, v10
	v_cvt_f32_f16_e32 v10, v5
	s_delay_alu instid0(VALU_DEP_2) | instskip(SKIP_1) | instid1(VALU_DEP_1)
	v_cndmask_b32_e64 v2, v2, -v2, s22
	v_ashrrev_i32_e32 v7, 31, v6
	v_mul_u64_e32 v[8:9], s[8:9], v[6:7]
	v_mad_u32 v6, s26, v6, v1
	s_delay_alu instid0(VALU_DEP_1) | instskip(NEXT) | instid1(VALU_DEP_3)
	v_dual_add_nc_u32 v1, s28, v1 :: v_dual_ashrrev_i32 v7, 31, v6
	v_lshl_add_u64 v[8:9], v[8:9], 2, s[4:5]
	s_delay_alu instid0(VALU_DEP_1) | instskip(SKIP_3) | instid1(VALU_DEP_1)
	v_lshl_add_u64 v[6:7], v[6:7], 2, v[8:9]
	global_load_b64 v[8:9], v[6:7], off
	s_wait_loadcnt 0x0
	v_pk_mul_f32 v[12:13], v[8:9], v[2:3] op_sel:[1,0] op_sel_hi:[0,0]
	v_pk_fma_f32 v[14:15], v[8:9], v[10:11], v[12:13] op_sel_hi:[1,0,1]
	v_pk_fma_f32 v[8:9], v[8:9], v[10:11], v[12:13] neg_lo:[0,0,1] neg_hi:[0,0,1]
	s_delay_alu instid0(VALU_DEP_2)
	v_mov_b32_e32 v9, v15
	global_store_b64 v[6:7], v[8:9], off
	s_wait_xcnt 0x0
	s_and_not1_b32 exec_lo, exec_lo, s29
	s_cbranch_execnz .LBB3_2
.LBB3_3:
	s_or_b32 exec_lo, exec_lo, s23
	s_load_b64 s[4:5], s[0:1], 0x10
	s_wait_kmcnt 0x0
	s_cmp_lg_u64 s[4:5], 0
	s_cbranch_scc0 .LBB3_7
; %bb.4:
	s_mul_i32 s10, s11, s2
	s_mov_b32 s11, exec_lo
	v_cmpx_gt_i32_e64 s10, v0
	s_cbranch_execz .LBB3_7
; %bb.5:
	s_abs_i32 s11, s2
	s_load_b32 s0, s[0:1], 0x6c
	s_cvt_f32_u32 s18, s11
	s_lshl_b64 s[12:13], s[12:13], 2
	s_wait_xcnt 0x0
	s_mov_b32 s1, 0
	v_mov_b32_e32 v3, 0
	v_rcp_iflag_f32_e32 v1, s18
	s_mul_u64 s[18:19], s[6:7], s[20:21]
	s_sub_co_i32 s20, 0, s11
	s_lshl_b64 s[18:19], s[18:19], 2
	s_sub_co_i32 s6, 0, s2
	s_lshl_b32 s2, s2, 1
	s_add_nc_u64 s[4:5], s[4:5], s[18:19]
	v_nop
	v_readfirstlane_b32 s7, v1
	v_lshlrev_b32_e32 v1, 1, v0
	s_sub_co_i32 s2, 0, s2
	s_add_nc_u64 s[4:5], s[4:5], s[12:13]
	s_mov_b32 s13, s1
	s_mul_f32 s7, s7, 0x4f7ffffe
	s_delay_alu instid0(SALU_CYCLE_3) | instskip(SKIP_2) | instid1(SALU_CYCLE_1)
	s_cvt_u32_f32 s21, s7
	s_wait_kmcnt 0x0
	s_and_b32 s7, s0, 0xffff
	s_lshl_b32 s12, s7, 1
	s_mul_i32 s20, s20, s21
	s_delay_alu instid0(SALU_CYCLE_1) | instskip(NEXT) | instid1(SALU_CYCLE_1)
	s_mul_hi_u32 s0, s21, s20
	s_add_co_i32 s0, s21, s0
.LBB3_6:                                ; =>This Inner Loop Header: Depth=1
	v_sub_nc_u32_e32 v2, 0, v0
	s_delay_alu instid0(VALU_DEP_1) | instskip(NEXT) | instid1(VALU_DEP_1)
	v_max_i32_e32 v2, v0, v2
	v_mul_u64_e32 v[4:5], s[0:1], v[2:3]
	s_delay_alu instid0(VALU_DEP_1) | instskip(NEXT) | instid1(VALU_DEP_1)
	v_mul_lo_u32 v4, v5, s11
	v_dual_add_nc_u32 v6, 1, v5 :: v_dual_sub_nc_u32 v2, v2, v4
	s_delay_alu instid0(VALU_DEP_1) | instskip(NEXT) | instid1(VALU_DEP_2)
	v_cmp_le_u32_e32 vcc_lo, s11, v2
	v_cndmask_b32_e32 v5, v5, v6, vcc_lo
	v_subrev_nc_u32_e32 v4, s11, v2
	v_ashrrev_i32_e32 v6, 31, v0
	s_delay_alu instid0(VALU_DEP_2) | instskip(NEXT) | instid1(VALU_DEP_1)
	v_dual_cndmask_b32 v2, v2, v4, vcc_lo :: v_dual_add_nc_u32 v4, 1, v5
	v_cmp_le_u32_e32 vcc_lo, s11, v2
	s_delay_alu instid0(VALU_DEP_2) | instskip(NEXT) | instid1(VALU_DEP_1)
	v_dual_cndmask_b32 v2, v5, v4, vcc_lo :: v_dual_bitop2_b32 v6, s3, v6 bitop3:0x14
	v_xor_b32_e32 v2, v2, v6
	s_delay_alu instid0(VALU_DEP_1) | instskip(NEXT) | instid1(VALU_DEP_1)
	v_sub_nc_u32_e32 v4, v2, v6
	v_mad_u32 v2, s6, v4, v0
	v_add_nc_u32_e32 v0, s7, v0
	v_ashrrev_i32_e32 v5, 31, v4
	s_clause 0x1
	global_load_u16 v8, v2, s[14:15] scale_offset
	global_load_u16 v9, v2, s[16:17] scale_offset
	v_mul_u64_e32 v[6:7], s[8:9], v[4:5]
	v_mad_u32 v4, s2, v4, v1
	v_cmp_le_i32_e32 vcc_lo, s10, v0
	v_add_nc_u32_e32 v1, s12, v1
	s_or_b32 s13, vcc_lo, s13
	s_delay_alu instid0(VALU_DEP_4) | instskip(SKIP_4) | instid1(VALU_DEP_1)
	v_lshl_add_u64 v[6:7], v[6:7], 2, s[4:5]
	s_wait_loadcnt 0x1
	v_cvt_f32_f16_e32 v8, v8
	s_wait_loadcnt 0x0
	v_cvt_f32_f16_e32 v2, v9
	v_dual_ashrrev_i32 v5, 31, v4 :: v_dual_cndmask_b32 v2, v2, -v2, s22
	s_delay_alu instid0(VALU_DEP_1) | instskip(SKIP_3) | instid1(VALU_DEP_1)
	v_lshl_add_u64 v[4:5], v[4:5], 2, v[6:7]
	global_load_b64 v[6:7], v[4:5], off
	s_wait_loadcnt 0x0
	v_pk_mul_f32 v[10:11], v[6:7], v[2:3] op_sel:[1,0] op_sel_hi:[0,0]
	v_pk_fma_f32 v[12:13], v[6:7], v[8:9], v[10:11] op_sel_hi:[1,0,1]
	v_pk_fma_f32 v[6:7], v[6:7], v[8:9], v[10:11] neg_lo:[0,0,1] neg_hi:[0,0,1]
	s_delay_alu instid0(VALU_DEP_2)
	v_mov_b32_e32 v7, v13
	global_store_b64 v[4:5], v[6:7], off
	s_wait_xcnt 0x0
	s_and_not1_b32 exec_lo, exec_lo, s13
	s_cbranch_execnz .LBB3_6
.LBB3_7:
	s_endpgm
	.section	.rodata,"a",@progbits
	.p2align	6, 0x0
	.amdhsa_kernel _ZN4vllm23rotary_embedding_kernelIfN3c104HalfELb0EEEvPKlPT_S6_PKT0_illliiilb
		.amdhsa_group_segment_fixed_size 0
		.amdhsa_private_segment_fixed_size 0
		.amdhsa_kernarg_size 352
		.amdhsa_user_sgpr_count 2
		.amdhsa_user_sgpr_dispatch_ptr 0
		.amdhsa_user_sgpr_queue_ptr 0
		.amdhsa_user_sgpr_kernarg_segment_ptr 1
		.amdhsa_user_sgpr_dispatch_id 0
		.amdhsa_user_sgpr_kernarg_preload_length 0
		.amdhsa_user_sgpr_kernarg_preload_offset 0
		.amdhsa_user_sgpr_private_segment_size 0
		.amdhsa_wavefront_size32 1
		.amdhsa_uses_dynamic_stack 0
		.amdhsa_enable_private_segment 0
		.amdhsa_system_sgpr_workgroup_id_x 1
		.amdhsa_system_sgpr_workgroup_id_y 0
		.amdhsa_system_sgpr_workgroup_id_z 0
		.amdhsa_system_sgpr_workgroup_info 0
		.amdhsa_system_vgpr_workitem_id 0
		.amdhsa_next_free_vgpr 16
		.amdhsa_next_free_sgpr 34
		.amdhsa_named_barrier_count 0
		.amdhsa_reserve_vcc 1
		.amdhsa_float_round_mode_32 0
		.amdhsa_float_round_mode_16_64 0
		.amdhsa_float_denorm_mode_32 3
		.amdhsa_float_denorm_mode_16_64 3
		.amdhsa_fp16_overflow 0
		.amdhsa_memory_ordered 1
		.amdhsa_forward_progress 1
		.amdhsa_inst_pref_size 9
		.amdhsa_round_robin_scheduling 0
		.amdhsa_exception_fp_ieee_invalid_op 0
		.amdhsa_exception_fp_denorm_src 0
		.amdhsa_exception_fp_ieee_div_zero 0
		.amdhsa_exception_fp_ieee_overflow 0
		.amdhsa_exception_fp_ieee_underflow 0
		.amdhsa_exception_fp_ieee_inexact 0
		.amdhsa_exception_int_div_zero 0
	.end_amdhsa_kernel
	.section	.text._ZN4vllm23rotary_embedding_kernelIfN3c104HalfELb0EEEvPKlPT_S6_PKT0_illliiilb,"axG",@progbits,_ZN4vllm23rotary_embedding_kernelIfN3c104HalfELb0EEEvPKlPT_S6_PKT0_illliiilb,comdat
.Lfunc_end3:
	.size	_ZN4vllm23rotary_embedding_kernelIfN3c104HalfELb0EEEvPKlPT_S6_PKT0_illliiilb, .Lfunc_end3-_ZN4vllm23rotary_embedding_kernelIfN3c104HalfELb0EEEvPKlPT_S6_PKT0_illliiilb
                                        ; -- End function
	.set _ZN4vllm23rotary_embedding_kernelIfN3c104HalfELb0EEEvPKlPT_S6_PKT0_illliiilb.num_vgpr, 16
	.set _ZN4vllm23rotary_embedding_kernelIfN3c104HalfELb0EEEvPKlPT_S6_PKT0_illliiilb.num_agpr, 0
	.set _ZN4vllm23rotary_embedding_kernelIfN3c104HalfELb0EEEvPKlPT_S6_PKT0_illliiilb.numbered_sgpr, 34
	.set _ZN4vllm23rotary_embedding_kernelIfN3c104HalfELb0EEEvPKlPT_S6_PKT0_illliiilb.num_named_barrier, 0
	.set _ZN4vllm23rotary_embedding_kernelIfN3c104HalfELb0EEEvPKlPT_S6_PKT0_illliiilb.private_seg_size, 0
	.set _ZN4vllm23rotary_embedding_kernelIfN3c104HalfELb0EEEvPKlPT_S6_PKT0_illliiilb.uses_vcc, 1
	.set _ZN4vllm23rotary_embedding_kernelIfN3c104HalfELb0EEEvPKlPT_S6_PKT0_illliiilb.uses_flat_scratch, 0
	.set _ZN4vllm23rotary_embedding_kernelIfN3c104HalfELb0EEEvPKlPT_S6_PKT0_illliiilb.has_dyn_sized_stack, 0
	.set _ZN4vllm23rotary_embedding_kernelIfN3c104HalfELb0EEEvPKlPT_S6_PKT0_illliiilb.has_recursion, 0
	.set _ZN4vllm23rotary_embedding_kernelIfN3c104HalfELb0EEEvPKlPT_S6_PKT0_illliiilb.has_indirect_call, 0
	.section	.AMDGPU.csdata,"",@progbits
; Kernel info:
; codeLenInByte = 1124
; TotalNumSgprs: 36
; NumVgprs: 16
; ScratchSize: 0
; MemoryBound: 0
; FloatMode: 240
; IeeeMode: 1
; LDSByteSize: 0 bytes/workgroup (compile time only)
; SGPRBlocks: 0
; VGPRBlocks: 0
; NumSGPRsForWavesPerEU: 36
; NumVGPRsForWavesPerEU: 16
; NamedBarCnt: 0
; Occupancy: 16
; WaveLimiterHint : 1
; COMPUTE_PGM_RSRC2:SCRATCH_EN: 0
; COMPUTE_PGM_RSRC2:USER_SGPR: 2
; COMPUTE_PGM_RSRC2:TRAP_HANDLER: 0
; COMPUTE_PGM_RSRC2:TGID_X_EN: 1
; COMPUTE_PGM_RSRC2:TGID_Y_EN: 0
; COMPUTE_PGM_RSRC2:TGID_Z_EN: 0
; COMPUTE_PGM_RSRC2:TIDIG_COMP_CNT: 0
	.section	.text._ZN4vllm23rotary_embedding_kernelIfN3c108BFloat16ELb1EEEvPKlPT_S6_PKT0_illliiilb,"axG",@progbits,_ZN4vllm23rotary_embedding_kernelIfN3c108BFloat16ELb1EEEvPKlPT_S6_PKT0_illliiilb,comdat
	.protected	_ZN4vllm23rotary_embedding_kernelIfN3c108BFloat16ELb1EEEvPKlPT_S6_PKT0_illliiilb ; -- Begin function _ZN4vllm23rotary_embedding_kernelIfN3c108BFloat16ELb1EEEvPKlPT_S6_PKT0_illliiilb
	.globl	_ZN4vllm23rotary_embedding_kernelIfN3c108BFloat16ELb1EEEvPKlPT_S6_PKT0_illliiilb
	.p2align	8
	.type	_ZN4vllm23rotary_embedding_kernelIfN3c108BFloat16ELb1EEEvPKlPT_S6_PKT0_illliiilb,@function
_ZN4vllm23rotary_embedding_kernelIfN3c108BFloat16ELb1EEEvPKlPT_S6_PKT0_illliiilb: ; @_ZN4vllm23rotary_embedding_kernelIfN3c108BFloat16ELb1EEEvPKlPT_S6_PKT0_illliiilb
; %bb.0:
	s_clause 0x2
	s_load_b96 s[16:18], s[0:1], 0x18
	s_load_b96 s[12:14], s[0:1], 0x50
	s_load_b64 s[2:3], s[0:1], 0x0
	s_getreg_b32 s6, hwreg(HW_REG_IB_STS2, 6, 4)
	s_mov_b32 s19, 0
	s_mov_b32 s23, exec_lo
	s_wait_kmcnt 0x0
	s_ashr_i32 s15, s18, 31
	s_bitcmp1_b32 s14, 0
	s_mov_b32 s14, s18
	s_cselect_b32 s22, -1, 0
	s_bfe_u32 s4, ttmp6, 0x4000c
	s_and_b32 s5, ttmp6, 15
	s_add_co_i32 s4, s4, 1
	s_delay_alu instid0(SALU_CYCLE_1) | instskip(NEXT) | instid1(SALU_CYCLE_1)
	s_mul_i32 s4, ttmp9, s4
	s_add_co_i32 s5, s5, s4
	s_cmp_eq_u32 s6, 0
	s_cselect_b32 s20, ttmp9, s5
	s_delay_alu instid0(SALU_CYCLE_1) | instskip(NEXT) | instid1(SALU_CYCLE_1)
	s_ashr_i32 s21, s20, 31
	s_lshl_b64 s[4:5], s[20:21], 3
	s_delay_alu instid0(SALU_CYCLE_1) | instskip(SKIP_4) | instid1(SALU_CYCLE_1)
	s_add_nc_u64 s[2:3], s[2:3], s[4:5]
	s_load_b64 s[24:25], s[2:3], 0x0
	s_load_b256 s[4:11], s[0:1], 0x28
	s_wait_xcnt 0x0
	s_lshr_b32 s2, s18, 31
	s_add_co_i32 s2, s18, s2
	s_delay_alu instid0(SALU_CYCLE_1) | instskip(NEXT) | instid1(SALU_CYCLE_1)
	s_ashr_i32 s2, s2, 1
	s_ashr_i32 s3, s2, 31
	s_wait_kmcnt 0x0
	s_mul_u64 s[14:15], s[24:25], s[14:15]
	s_mul_i32 s10, s10, s2
	s_lshl_b64 s[14:15], s[14:15], 1
	s_delay_alu instid0(SALU_CYCLE_1) | instskip(SKIP_1) | instid1(SALU_CYCLE_1)
	s_add_nc_u64 s[14:15], s[16:17], s[14:15]
	s_lshl_b64 s[16:17], s[2:3], 1
	s_add_nc_u64 s[16:17], s[14:15], s[16:17]
	v_cmpx_gt_i32_e64 s10, v0
	s_cbranch_execz .LBB4_3
; %bb.1:
	s_abs_i32 s24, s2
	s_load_b64 s[28:29], s[0:1], 0x8
	s_cvt_f32_u32 s18, s24
	s_mul_u64 s[4:5], s[4:5], s[20:21]
	v_mov_b32_e32 v3, 0
	s_lshl_b64 s[4:5], s[4:5], 2
	v_rcp_iflag_f32_e32 v1, s18
	s_load_b32 s18, s[0:1], 0x6c
	s_lshl_b64 s[30:31], s[12:13], 2
	s_ashr_i32 s25, s2, 31
	v_nop
	s_delay_alu instid0(TRANS32_DEP_1)
	v_readfirstlane_b32 s26, v1
	v_mov_b32_e32 v1, v0
	s_mul_f32 s27, s26, 0x4f7ffffe
	s_sub_co_i32 s26, 0, s2
	s_wait_kmcnt 0x0
	s_add_nc_u64 s[4:5], s[28:29], s[4:5]
	s_cvt_u32_f32 s33, s27
	s_sub_co_i32 s27, 0, s24
	s_add_nc_u64 s[4:5], s[4:5], s[30:31]
	s_delay_alu instid0(SALU_CYCLE_1)
	s_mul_i32 s28, s27, s33
	s_and_b32 s27, s18, 0xffff
	s_mul_hi_u32 s18, s33, s28
	s_mov_b32 s28, s19
	s_add_co_i32 s18, s33, s18
.LBB4_2:                                ; =>This Inner Loop Header: Depth=1
	v_sub_nc_u32_e32 v2, 0, v1
	s_delay_alu instid0(VALU_DEP_1) | instskip(NEXT) | instid1(VALU_DEP_1)
	v_max_i32_e32 v2, v1, v2
	v_mul_u64_e32 v[4:5], s[18:19], v[2:3]
	s_delay_alu instid0(VALU_DEP_1) | instskip(NEXT) | instid1(VALU_DEP_1)
	v_mul_lo_u32 v4, v5, s24
	v_dual_add_nc_u32 v6, 1, v5 :: v_dual_sub_nc_u32 v2, v2, v4
	s_delay_alu instid0(VALU_DEP_1) | instskip(NEXT) | instid1(VALU_DEP_2)
	v_cmp_le_u32_e32 vcc_lo, s24, v2
	v_dual_cndmask_b32 v5, v5, v6 :: v_dual_ashrrev_i32 v6, 31, v1
	v_subrev_nc_u32_e32 v4, s24, v2
	s_delay_alu instid0(VALU_DEP_1) | instskip(NEXT) | instid1(VALU_DEP_1)
	v_dual_cndmask_b32 v2, v2, v4, vcc_lo :: v_dual_add_nc_u32 v4, 1, v5
	v_cmp_le_u32_e32 vcc_lo, s24, v2
	s_delay_alu instid0(VALU_DEP_2) | instskip(NEXT) | instid1(VALU_DEP_1)
	v_dual_cndmask_b32 v2, v5, v4, vcc_lo :: v_dual_bitop2_b32 v6, s25, v6 bitop3:0x14
	v_xor_b32_e32 v2, v2, v6
	s_delay_alu instid0(VALU_DEP_1) | instskip(NEXT) | instid1(VALU_DEP_1)
	v_sub_nc_u32_e32 v4, v2, v6
	v_ashrrev_i32_e32 v5, 31, v4
	s_delay_alu instid0(VALU_DEP_1)
	v_mul_u64_e32 v[6:7], s[8:9], v[4:5]
	v_mad_u32 v4, s26, v4, v1
	s_clause 0x1
	global_load_u16 v2, v4, s[14:15] scale_offset
	global_load_u16 v8, v4, s[16:17] scale_offset
	v_dual_ashrrev_i32 v5, 31, v4 :: v_dual_add_nc_u32 v1, s27, v1
	s_delay_alu instid0(VALU_DEP_1) | instskip(SKIP_3) | instid1(VALU_DEP_1)
	v_cmp_le_i32_e32 vcc_lo, s10, v1
	s_or_b32 s28, vcc_lo, s28
	v_lshl_add_u64 v[6:7], v[6:7], 2, s[4:5]
	s_wait_xcnt 0x0
	v_lshl_add_u64 v[4:5], v[4:5], 2, v[6:7]
	s_delay_alu instid0(VALU_DEP_1)
	v_lshl_add_u64 v[6:7], s[2:3], 2, v[4:5]
	s_clause 0x1
	global_load_b32 v9, v[4:5], off
	global_load_b32 v10, v[6:7], off
	s_wait_loadcnt 0x2
	v_lshlrev_b32_e32 v8, 16, v8
	s_delay_alu instid0(VALU_DEP_1) | instskip(SKIP_1) | instid1(VALU_DEP_1)
	v_cndmask_b32_e64 v8, v8, -v8, s22
	s_wait_loadcnt 0x0
	v_dual_mul_f32 v11, v9, v8 :: v_dual_mul_f32 v8, v10, v8
	s_delay_alu instid0(VALU_DEP_1) | instskip(NEXT) | instid1(VALU_DEP_2)
	v_fma_mix_f32_bf16 v10, v10, v2, v11 op_sel_hi:[0,1,0]
	v_fma_mix_f32_bf16 v2, v9, v2, -v8 op_sel_hi:[0,1,0]
	s_clause 0x1
	global_store_b32 v[4:5], v2, off
	global_store_b32 v[6:7], v10, off
	s_wait_xcnt 0x0
	s_and_not1_b32 exec_lo, exec_lo, s28
	s_cbranch_execnz .LBB4_2
.LBB4_3:
	s_or_b32 exec_lo, exec_lo, s23
	s_load_b64 s[4:5], s[0:1], 0x10
	s_wait_kmcnt 0x0
	s_cmp_lg_u64 s[4:5], 0
	s_cbranch_scc0 .LBB4_7
; %bb.4:
	s_mul_i32 s10, s11, s2
	s_mov_b32 s11, exec_lo
	v_cmpx_gt_i32_e64 s10, v0
	s_cbranch_execz .LBB4_7
; %bb.5:
	s_abs_i32 s11, s2
	s_load_b32 s0, s[0:1], 0x6c
	s_cvt_f32_u32 s18, s11
	s_lshl_b64 s[12:13], s[12:13], 2
	v_mov_b32_e32 v3, 0
	s_delay_alu instid0(SALU_CYCLE_1)
	v_rcp_iflag_f32_e32 v1, s18
	s_mul_u64 s[18:19], s[6:7], s[20:21]
	s_sub_co_i32 s21, 0, s11
	s_lshl_b64 s[18:19], s[18:19], 2
	s_ashr_i32 s6, s2, 31
	s_add_nc_u64 s[4:5], s[4:5], s[18:19]
	s_sub_co_i32 s7, 0, s2
	s_wait_xcnt 0x0
	v_nop
	v_readfirstlane_b32 s1, v1
	s_add_nc_u64 s[4:5], s[4:5], s[12:13]
	s_mul_f32 s20, s1, 0x4f7ffffe
	s_mov_b32 s1, 0
	s_wait_kmcnt 0x0
	s_and_b32 s12, s0, 0xffff
	s_cvt_u32_f32 s20, s20
	s_delay_alu instid0(SALU_CYCLE_3) | instskip(NEXT) | instid1(SALU_CYCLE_1)
	s_mul_i32 s21, s21, s20
	s_mul_hi_u32 s13, s20, s21
	s_delay_alu instid0(SALU_CYCLE_1)
	s_add_co_i32 s0, s20, s13
	s_mov_b32 s13, s1
.LBB4_6:                                ; =>This Inner Loop Header: Depth=1
	v_sub_nc_u32_e32 v1, 0, v0
	s_delay_alu instid0(VALU_DEP_1) | instskip(NEXT) | instid1(VALU_DEP_1)
	v_max_i32_e32 v2, v0, v1
	v_mul_u64_e32 v[4:5], s[0:1], v[2:3]
	s_delay_alu instid0(VALU_DEP_1) | instskip(SKIP_1) | instid1(VALU_DEP_2)
	v_mul_lo_u32 v1, v5, s11
	v_add_nc_u32_e32 v4, 1, v5
	v_sub_nc_u32_e32 v1, v2, v1
	s_delay_alu instid0(VALU_DEP_1) | instskip(NEXT) | instid1(VALU_DEP_3)
	v_cmp_le_u32_e32 vcc_lo, s11, v1
	v_cndmask_b32_e32 v4, v5, v4, vcc_lo
	v_ashrrev_i32_e32 v5, 31, v0
	v_subrev_nc_u32_e32 v2, s11, v1
	s_delay_alu instid0(VALU_DEP_1) | instskip(NEXT) | instid1(VALU_DEP_1)
	v_dual_cndmask_b32 v1, v1, v2 :: v_dual_add_nc_u32 v2, 1, v4
	v_cmp_le_u32_e32 vcc_lo, s11, v1
	s_delay_alu instid0(VALU_DEP_2) | instskip(NEXT) | instid1(VALU_DEP_1)
	v_dual_cndmask_b32 v1, v4, v2, vcc_lo :: v_dual_bitop2_b32 v5, s6, v5 bitop3:0x14
	v_xor_b32_e32 v1, v1, v5
	s_delay_alu instid0(VALU_DEP_1) | instskip(NEXT) | instid1(VALU_DEP_1)
	v_sub_nc_u32_e32 v4, v1, v5
	v_ashrrev_i32_e32 v5, 31, v4
	s_delay_alu instid0(VALU_DEP_1)
	v_mul_u64_e32 v[6:7], s[8:9], v[4:5]
	v_mad_u32 v4, s7, v4, v0
	s_clause 0x1
	global_load_u16 v1, v4, s[14:15] scale_offset
	global_load_u16 v2, v4, s[16:17] scale_offset
	v_lshl_add_u64 v[6:7], v[6:7], 2, s[4:5]
	s_wait_loadcnt 0x0
	v_dual_lshlrev_b32 v2, 16, v2 :: v_dual_ashrrev_i32 v5, 31, v4
	s_delay_alu instid0(VALU_DEP_1) | instskip(SKIP_1) | instid1(VALU_DEP_2)
	v_cndmask_b32_e64 v2, v2, -v2, s22
	s_wait_xcnt 0x0
	v_lshl_add_u64 v[4:5], v[4:5], 2, v[6:7]
	s_delay_alu instid0(VALU_DEP_1)
	v_lshl_add_u64 v[6:7], s[2:3], 2, v[4:5]
	s_clause 0x1
	global_load_b32 v8, v[4:5], off
	global_load_b32 v9, v[6:7], off
	s_wait_loadcnt 0x1
	v_dual_add_nc_u32 v0, s12, v0 :: v_dual_mul_f32 v10, v8, v2
	s_wait_loadcnt 0x0
	v_mul_f32_e32 v2, v9, v2
	s_delay_alu instid0(VALU_DEP_2) | instskip(NEXT) | instid1(VALU_DEP_3)
	v_cmp_le_i32_e32 vcc_lo, s10, v0
	v_fma_mix_f32_bf16 v9, v9, v1, v10 op_sel_hi:[0,1,0]
	s_delay_alu instid0(VALU_DEP_3)
	v_fma_mix_f32_bf16 v1, v8, v1, -v2 op_sel_hi:[0,1,0]
	s_or_b32 s13, vcc_lo, s13
	s_clause 0x1
	global_store_b32 v[4:5], v1, off
	global_store_b32 v[6:7], v9, off
	s_wait_xcnt 0x0
	s_and_not1_b32 exec_lo, exec_lo, s13
	s_cbranch_execnz .LBB4_6
.LBB4_7:
	s_endpgm
	.section	.rodata,"a",@progbits
	.p2align	6, 0x0
	.amdhsa_kernel _ZN4vllm23rotary_embedding_kernelIfN3c108BFloat16ELb1EEEvPKlPT_S6_PKT0_illliiilb
		.amdhsa_group_segment_fixed_size 0
		.amdhsa_private_segment_fixed_size 0
		.amdhsa_kernarg_size 352
		.amdhsa_user_sgpr_count 2
		.amdhsa_user_sgpr_dispatch_ptr 0
		.amdhsa_user_sgpr_queue_ptr 0
		.amdhsa_user_sgpr_kernarg_segment_ptr 1
		.amdhsa_user_sgpr_dispatch_id 0
		.amdhsa_user_sgpr_kernarg_preload_length 0
		.amdhsa_user_sgpr_kernarg_preload_offset 0
		.amdhsa_user_sgpr_private_segment_size 0
		.amdhsa_wavefront_size32 1
		.amdhsa_uses_dynamic_stack 0
		.amdhsa_enable_private_segment 0
		.amdhsa_system_sgpr_workgroup_id_x 1
		.amdhsa_system_sgpr_workgroup_id_y 0
		.amdhsa_system_sgpr_workgroup_id_z 0
		.amdhsa_system_sgpr_workgroup_info 0
		.amdhsa_system_vgpr_workitem_id 0
		.amdhsa_next_free_vgpr 12
		.amdhsa_next_free_sgpr 34
		.amdhsa_named_barrier_count 0
		.amdhsa_reserve_vcc 1
		.amdhsa_float_round_mode_32 0
		.amdhsa_float_round_mode_16_64 0
		.amdhsa_float_denorm_mode_32 3
		.amdhsa_float_denorm_mode_16_64 3
		.amdhsa_fp16_overflow 0
		.amdhsa_memory_ordered 1
		.amdhsa_forward_progress 1
		.amdhsa_inst_pref_size 10
		.amdhsa_round_robin_scheduling 0
		.amdhsa_exception_fp_ieee_invalid_op 0
		.amdhsa_exception_fp_denorm_src 0
		.amdhsa_exception_fp_ieee_div_zero 0
		.amdhsa_exception_fp_ieee_overflow 0
		.amdhsa_exception_fp_ieee_underflow 0
		.amdhsa_exception_fp_ieee_inexact 0
		.amdhsa_exception_int_div_zero 0
	.end_amdhsa_kernel
	.section	.text._ZN4vllm23rotary_embedding_kernelIfN3c108BFloat16ELb1EEEvPKlPT_S6_PKT0_illliiilb,"axG",@progbits,_ZN4vllm23rotary_embedding_kernelIfN3c108BFloat16ELb1EEEvPKlPT_S6_PKT0_illliiilb,comdat
.Lfunc_end4:
	.size	_ZN4vllm23rotary_embedding_kernelIfN3c108BFloat16ELb1EEEvPKlPT_S6_PKT0_illliiilb, .Lfunc_end4-_ZN4vllm23rotary_embedding_kernelIfN3c108BFloat16ELb1EEEvPKlPT_S6_PKT0_illliiilb
                                        ; -- End function
	.set _ZN4vllm23rotary_embedding_kernelIfN3c108BFloat16ELb1EEEvPKlPT_S6_PKT0_illliiilb.num_vgpr, 12
	.set _ZN4vllm23rotary_embedding_kernelIfN3c108BFloat16ELb1EEEvPKlPT_S6_PKT0_illliiilb.num_agpr, 0
	.set _ZN4vllm23rotary_embedding_kernelIfN3c108BFloat16ELb1EEEvPKlPT_S6_PKT0_illliiilb.numbered_sgpr, 34
	.set _ZN4vllm23rotary_embedding_kernelIfN3c108BFloat16ELb1EEEvPKlPT_S6_PKT0_illliiilb.num_named_barrier, 0
	.set _ZN4vllm23rotary_embedding_kernelIfN3c108BFloat16ELb1EEEvPKlPT_S6_PKT0_illliiilb.private_seg_size, 0
	.set _ZN4vllm23rotary_embedding_kernelIfN3c108BFloat16ELb1EEEvPKlPT_S6_PKT0_illliiilb.uses_vcc, 1
	.set _ZN4vllm23rotary_embedding_kernelIfN3c108BFloat16ELb1EEEvPKlPT_S6_PKT0_illliiilb.uses_flat_scratch, 0
	.set _ZN4vllm23rotary_embedding_kernelIfN3c108BFloat16ELb1EEEvPKlPT_S6_PKT0_illliiilb.has_dyn_sized_stack, 0
	.set _ZN4vllm23rotary_embedding_kernelIfN3c108BFloat16ELb1EEEvPKlPT_S6_PKT0_illliiilb.has_recursion, 0
	.set _ZN4vllm23rotary_embedding_kernelIfN3c108BFloat16ELb1EEEvPKlPT_S6_PKT0_illliiilb.has_indirect_call, 0
	.section	.AMDGPU.csdata,"",@progbits
; Kernel info:
; codeLenInByte = 1160
; TotalNumSgprs: 36
; NumVgprs: 12
; ScratchSize: 0
; MemoryBound: 0
; FloatMode: 240
; IeeeMode: 1
; LDSByteSize: 0 bytes/workgroup (compile time only)
; SGPRBlocks: 0
; VGPRBlocks: 0
; NumSGPRsForWavesPerEU: 36
; NumVGPRsForWavesPerEU: 12
; NamedBarCnt: 0
; Occupancy: 16
; WaveLimiterHint : 1
; COMPUTE_PGM_RSRC2:SCRATCH_EN: 0
; COMPUTE_PGM_RSRC2:USER_SGPR: 2
; COMPUTE_PGM_RSRC2:TRAP_HANDLER: 0
; COMPUTE_PGM_RSRC2:TGID_X_EN: 1
; COMPUTE_PGM_RSRC2:TGID_Y_EN: 0
; COMPUTE_PGM_RSRC2:TGID_Z_EN: 0
; COMPUTE_PGM_RSRC2:TIDIG_COMP_CNT: 0
	.section	.text._ZN4vllm23rotary_embedding_kernelIfN3c108BFloat16ELb0EEEvPKlPT_S6_PKT0_illliiilb,"axG",@progbits,_ZN4vllm23rotary_embedding_kernelIfN3c108BFloat16ELb0EEEvPKlPT_S6_PKT0_illliiilb,comdat
	.protected	_ZN4vllm23rotary_embedding_kernelIfN3c108BFloat16ELb0EEEvPKlPT_S6_PKT0_illliiilb ; -- Begin function _ZN4vllm23rotary_embedding_kernelIfN3c108BFloat16ELb0EEEvPKlPT_S6_PKT0_illliiilb
	.globl	_ZN4vllm23rotary_embedding_kernelIfN3c108BFloat16ELb0EEEvPKlPT_S6_PKT0_illliiilb
	.p2align	8
	.type	_ZN4vllm23rotary_embedding_kernelIfN3c108BFloat16ELb0EEEvPKlPT_S6_PKT0_illliiilb,@function
_ZN4vllm23rotary_embedding_kernelIfN3c108BFloat16ELb0EEEvPKlPT_S6_PKT0_illliiilb: ; @_ZN4vllm23rotary_embedding_kernelIfN3c108BFloat16ELb0EEEvPKlPT_S6_PKT0_illliiilb
; %bb.0:
	s_clause 0x2
	s_load_b96 s[16:18], s[0:1], 0x18
	s_load_b96 s[12:14], s[0:1], 0x50
	s_load_b64 s[2:3], s[0:1], 0x0
	s_getreg_b32 s6, hwreg(HW_REG_IB_STS2, 6, 4)
	s_mov_b32 s19, 0
	s_mov_b32 s23, exec_lo
	s_wait_kmcnt 0x0
	s_ashr_i32 s15, s18, 31
	s_bitcmp1_b32 s14, 0
	s_mov_b32 s14, s18
	s_cselect_b32 s22, -1, 0
	s_bfe_u32 s4, ttmp6, 0x4000c
	s_and_b32 s5, ttmp6, 15
	s_add_co_i32 s4, s4, 1
	s_delay_alu instid0(SALU_CYCLE_1) | instskip(NEXT) | instid1(SALU_CYCLE_1)
	s_mul_i32 s4, ttmp9, s4
	s_add_co_i32 s5, s5, s4
	s_cmp_eq_u32 s6, 0
	s_cselect_b32 s20, ttmp9, s5
	s_delay_alu instid0(SALU_CYCLE_1) | instskip(NEXT) | instid1(SALU_CYCLE_1)
	s_ashr_i32 s21, s20, 31
	s_lshl_b64 s[4:5], s[20:21], 3
	s_delay_alu instid0(SALU_CYCLE_1) | instskip(SKIP_4) | instid1(SALU_CYCLE_1)
	s_add_nc_u64 s[2:3], s[2:3], s[4:5]
	s_load_b64 s[24:25], s[2:3], 0x0
	s_load_b256 s[4:11], s[0:1], 0x28
	s_wait_xcnt 0x0
	s_lshr_b32 s2, s18, 31
	s_add_co_i32 s2, s18, s2
	s_delay_alu instid0(SALU_CYCLE_1) | instskip(NEXT) | instid1(SALU_CYCLE_1)
	s_ashr_i32 s2, s2, 1
	s_ashr_i32 s3, s2, 31
	s_wait_kmcnt 0x0
	s_mul_u64 s[14:15], s[24:25], s[14:15]
	s_mul_i32 s10, s10, s2
	s_lshl_b64 s[14:15], s[14:15], 1
	s_delay_alu instid0(SALU_CYCLE_1) | instskip(SKIP_1) | instid1(SALU_CYCLE_1)
	s_add_nc_u64 s[14:15], s[16:17], s[14:15]
	s_lshl_b64 s[16:17], s[2:3], 1
	s_add_nc_u64 s[16:17], s[14:15], s[16:17]
	v_cmpx_gt_i32_e64 s10, v0
	s_cbranch_execz .LBB5_3
; %bb.1:
	s_abs_i32 s24, s2
	s_clause 0x1
	s_load_b64 s[28:29], s[0:1], 0x8
	s_load_b32 s27, s[0:1], 0x6c
	s_cvt_f32_u32 s18, s24
	s_mul_u64 s[4:5], s[4:5], s[20:21]
	s_sub_co_i32 s33, 0, s24
	s_lshl_b64 s[4:5], s[4:5], 2
	v_rcp_iflag_f32_e32 v1, s18
	v_mov_b32_e32 v4, v0
	s_lshl_b64 s[30:31], s[12:13], 2
	s_lshl_b32 s26, s2, 1
	s_sub_co_i32 s25, 0, s2
	s_sub_co_i32 s26, 0, s26
	v_mov_b32_e32 v3, 0
	v_readfirstlane_b32 s18, v1
	v_lshlrev_b32_e32 v1, 1, v0
	s_mul_f32 s18, s18, 0x4f7ffffe
	s_wait_kmcnt 0x0
	s_add_nc_u64 s[4:5], s[28:29], s[4:5]
	s_and_b32 s27, s27, 0xffff
	s_cvt_u32_f32 s18, s18
	s_add_nc_u64 s[4:5], s[4:5], s[30:31]
	s_lshl_b32 s28, s27, 1
	s_delay_alu instid0(SALU_CYCLE_1) | instskip(NEXT) | instid1(SALU_CYCLE_1)
	s_mul_i32 s33, s33, s18
	s_mul_hi_u32 s29, s18, s33
	s_delay_alu instid0(SALU_CYCLE_1)
	s_add_co_i32 s18, s18, s29
	s_mov_b32 s29, s19
.LBB5_2:                                ; =>This Inner Loop Header: Depth=1
	v_sub_nc_u32_e32 v2, 0, v4
	s_delay_alu instid0(VALU_DEP_1) | instskip(NEXT) | instid1(VALU_DEP_1)
	v_max_i32_e32 v2, v4, v2
	v_mul_u64_e32 v[6:7], s[18:19], v[2:3]
	s_delay_alu instid0(VALU_DEP_1) | instskip(NEXT) | instid1(VALU_DEP_1)
	v_mul_lo_u32 v5, v7, s24
	v_dual_add_nc_u32 v6, 1, v7 :: v_dual_sub_nc_u32 v2, v2, v5
	s_delay_alu instid0(VALU_DEP_1) | instskip(NEXT) | instid1(VALU_DEP_2)
	v_cmp_le_u32_e32 vcc_lo, s24, v2
	v_cndmask_b32_e32 v6, v7, v6, vcc_lo
	v_subrev_nc_u32_e32 v5, s24, v2
	s_delay_alu instid0(VALU_DEP_1) | instskip(NEXT) | instid1(VALU_DEP_3)
	v_dual_cndmask_b32 v2, v2, v5 :: v_dual_ashrrev_i32 v7, 31, v4
	v_add_nc_u32_e32 v5, 1, v6
	s_delay_alu instid0(VALU_DEP_2) | instskip(NEXT) | instid1(VALU_DEP_2)
	v_cmp_le_u32_e32 vcc_lo, s24, v2
	v_dual_cndmask_b32 v2, v6, v5, vcc_lo :: v_dual_bitop2_b32 v7, s3, v7 bitop3:0x14
	s_delay_alu instid0(VALU_DEP_1) | instskip(NEXT) | instid1(VALU_DEP_1)
	v_xor_b32_e32 v2, v2, v7
	v_sub_nc_u32_e32 v6, v2, v7
	s_delay_alu instid0(VALU_DEP_1) | instskip(SKIP_4) | instid1(VALU_DEP_1)
	v_mad_u32 v2, s25, v6, v4
	s_clause 0x1
	global_load_u16 v5, v2, s[14:15] scale_offset
	global_load_u16 v10, v2, s[16:17] scale_offset
	v_add_nc_u32_e32 v4, s27, v4
	v_cmp_le_i32_e32 vcc_lo, s10, v4
	s_or_b32 s29, vcc_lo, s29
	s_wait_loadcnt 0x0
	s_wait_xcnt 0x0
	v_lshlrev_b32_e32 v2, 16, v10
	v_dual_ashrrev_i32 v7, 31, v6 :: v_dual_lshlrev_b32 v10, 16, v5
	s_delay_alu instid0(VALU_DEP_2) | instskip(NEXT) | instid1(VALU_DEP_2)
	v_cndmask_b32_e64 v2, v2, -v2, s22
	v_mul_u64_e32 v[8:9], s[8:9], v[6:7]
	v_mad_u32 v6, s26, v6, v1
	s_delay_alu instid0(VALU_DEP_1) | instskip(NEXT) | instid1(VALU_DEP_3)
	v_dual_add_nc_u32 v1, s28, v1 :: v_dual_ashrrev_i32 v7, 31, v6
	v_lshl_add_u64 v[8:9], v[8:9], 2, s[4:5]
	s_delay_alu instid0(VALU_DEP_1) | instskip(SKIP_3) | instid1(VALU_DEP_1)
	v_lshl_add_u64 v[6:7], v[6:7], 2, v[8:9]
	global_load_b64 v[8:9], v[6:7], off
	s_wait_loadcnt 0x0
	v_pk_mul_f32 v[12:13], v[8:9], v[2:3] op_sel:[1,0] op_sel_hi:[0,0]
	v_pk_fma_f32 v[14:15], v[8:9], v[10:11], v[12:13] op_sel_hi:[1,0,1]
	v_pk_fma_f32 v[8:9], v[8:9], v[10:11], v[12:13] neg_lo:[0,0,1] neg_hi:[0,0,1]
	s_delay_alu instid0(VALU_DEP_2)
	v_mov_b32_e32 v9, v15
	global_store_b64 v[6:7], v[8:9], off
	s_wait_xcnt 0x0
	s_and_not1_b32 exec_lo, exec_lo, s29
	s_cbranch_execnz .LBB5_2
.LBB5_3:
	s_or_b32 exec_lo, exec_lo, s23
	s_load_b64 s[4:5], s[0:1], 0x10
	s_wait_kmcnt 0x0
	s_cmp_lg_u64 s[4:5], 0
	s_cbranch_scc0 .LBB5_7
; %bb.4:
	s_mul_i32 s10, s11, s2
	s_mov_b32 s11, exec_lo
	v_cmpx_gt_i32_e64 s10, v0
	s_cbranch_execz .LBB5_7
; %bb.5:
	s_abs_i32 s11, s2
	s_load_b32 s0, s[0:1], 0x6c
	s_cvt_f32_u32 s18, s11
	s_lshl_b64 s[12:13], s[12:13], 2
	s_wait_xcnt 0x0
	s_mov_b32 s1, 0
	v_mov_b32_e32 v3, 0
	v_rcp_iflag_f32_e32 v1, s18
	s_mul_u64 s[18:19], s[6:7], s[20:21]
	s_sub_co_i32 s20, 0, s11
	s_lshl_b64 s[18:19], s[18:19], 2
	s_sub_co_i32 s6, 0, s2
	s_lshl_b32 s2, s2, 1
	s_add_nc_u64 s[4:5], s[4:5], s[18:19]
	v_nop
	v_readfirstlane_b32 s7, v1
	v_lshlrev_b32_e32 v1, 1, v0
	s_sub_co_i32 s2, 0, s2
	s_add_nc_u64 s[4:5], s[4:5], s[12:13]
	s_mov_b32 s13, s1
	s_mul_f32 s7, s7, 0x4f7ffffe
	s_delay_alu instid0(SALU_CYCLE_3) | instskip(SKIP_2) | instid1(SALU_CYCLE_1)
	s_cvt_u32_f32 s21, s7
	s_wait_kmcnt 0x0
	s_and_b32 s7, s0, 0xffff
	s_lshl_b32 s12, s7, 1
	s_mul_i32 s20, s20, s21
	s_delay_alu instid0(SALU_CYCLE_1) | instskip(NEXT) | instid1(SALU_CYCLE_1)
	s_mul_hi_u32 s0, s21, s20
	s_add_co_i32 s0, s21, s0
.LBB5_6:                                ; =>This Inner Loop Header: Depth=1
	v_sub_nc_u32_e32 v2, 0, v0
	s_delay_alu instid0(VALU_DEP_1) | instskip(NEXT) | instid1(VALU_DEP_1)
	v_max_i32_e32 v2, v0, v2
	v_mul_u64_e32 v[4:5], s[0:1], v[2:3]
	s_delay_alu instid0(VALU_DEP_1) | instskip(NEXT) | instid1(VALU_DEP_1)
	v_mul_lo_u32 v4, v5, s11
	v_dual_add_nc_u32 v6, 1, v5 :: v_dual_sub_nc_u32 v2, v2, v4
	s_delay_alu instid0(VALU_DEP_1) | instskip(NEXT) | instid1(VALU_DEP_2)
	v_cmp_le_u32_e32 vcc_lo, s11, v2
	v_cndmask_b32_e32 v5, v5, v6, vcc_lo
	v_subrev_nc_u32_e32 v4, s11, v2
	v_ashrrev_i32_e32 v6, 31, v0
	s_delay_alu instid0(VALU_DEP_2) | instskip(NEXT) | instid1(VALU_DEP_1)
	v_dual_cndmask_b32 v2, v2, v4, vcc_lo :: v_dual_add_nc_u32 v4, 1, v5
	v_cmp_le_u32_e32 vcc_lo, s11, v2
	s_delay_alu instid0(VALU_DEP_2) | instskip(NEXT) | instid1(VALU_DEP_1)
	v_dual_cndmask_b32 v2, v5, v4, vcc_lo :: v_dual_bitop2_b32 v6, s3, v6 bitop3:0x14
	v_xor_b32_e32 v2, v2, v6
	s_delay_alu instid0(VALU_DEP_1) | instskip(NEXT) | instid1(VALU_DEP_1)
	v_sub_nc_u32_e32 v4, v2, v6
	v_mad_u32 v2, s6, v4, v0
	v_add_nc_u32_e32 v0, s7, v0
	s_clause 0x1
	global_load_u16 v8, v2, s[14:15] scale_offset
	global_load_u16 v9, v2, s[16:17] scale_offset
	s_wait_loadcnt 0x0
	v_dual_lshlrev_b32 v8, 16, v8 :: v_dual_lshlrev_b32 v2, 16, v9
	s_delay_alu instid0(VALU_DEP_1) | instskip(NEXT) | instid1(VALU_DEP_1)
	v_dual_ashrrev_i32 v5, 31, v4 :: v_dual_cndmask_b32 v2, v2, -v2, s22
	v_mul_u64_e32 v[6:7], s[8:9], v[4:5]
	v_mad_u32 v4, s2, v4, v1
	v_add_nc_u32_e32 v1, s12, v1
	v_cmp_le_i32_e32 vcc_lo, s10, v0
	s_or_b32 s13, vcc_lo, s13
	s_delay_alu instid0(VALU_DEP_3) | instskip(SKIP_1) | instid1(VALU_DEP_1)
	v_ashrrev_i32_e32 v5, 31, v4
	v_lshl_add_u64 v[6:7], v[6:7], 2, s[4:5]
	v_lshl_add_u64 v[4:5], v[4:5], 2, v[6:7]
	global_load_b64 v[6:7], v[4:5], off
	s_wait_loadcnt 0x0
	v_pk_mul_f32 v[10:11], v[6:7], v[2:3] op_sel:[1,0] op_sel_hi:[0,0]
	s_delay_alu instid0(VALU_DEP_1) | instskip(SKIP_1) | instid1(VALU_DEP_2)
	v_pk_fma_f32 v[12:13], v[6:7], v[8:9], v[10:11] op_sel_hi:[1,0,1]
	v_pk_fma_f32 v[6:7], v[6:7], v[8:9], v[10:11] neg_lo:[0,0,1] neg_hi:[0,0,1]
	v_mov_b32_e32 v7, v13
	global_store_b64 v[4:5], v[6:7], off
	s_wait_xcnt 0x0
	s_and_not1_b32 exec_lo, exec_lo, s13
	s_cbranch_execnz .LBB5_6
.LBB5_7:
	s_endpgm
	.section	.rodata,"a",@progbits
	.p2align	6, 0x0
	.amdhsa_kernel _ZN4vllm23rotary_embedding_kernelIfN3c108BFloat16ELb0EEEvPKlPT_S6_PKT0_illliiilb
		.amdhsa_group_segment_fixed_size 0
		.amdhsa_private_segment_fixed_size 0
		.amdhsa_kernarg_size 352
		.amdhsa_user_sgpr_count 2
		.amdhsa_user_sgpr_dispatch_ptr 0
		.amdhsa_user_sgpr_queue_ptr 0
		.amdhsa_user_sgpr_kernarg_segment_ptr 1
		.amdhsa_user_sgpr_dispatch_id 0
		.amdhsa_user_sgpr_kernarg_preload_length 0
		.amdhsa_user_sgpr_kernarg_preload_offset 0
		.amdhsa_user_sgpr_private_segment_size 0
		.amdhsa_wavefront_size32 1
		.amdhsa_uses_dynamic_stack 0
		.amdhsa_enable_private_segment 0
		.amdhsa_system_sgpr_workgroup_id_x 1
		.amdhsa_system_sgpr_workgroup_id_y 0
		.amdhsa_system_sgpr_workgroup_id_z 0
		.amdhsa_system_sgpr_workgroup_info 0
		.amdhsa_system_vgpr_workitem_id 0
		.amdhsa_next_free_vgpr 16
		.amdhsa_next_free_sgpr 34
		.amdhsa_named_barrier_count 0
		.amdhsa_reserve_vcc 1
		.amdhsa_float_round_mode_32 0
		.amdhsa_float_round_mode_16_64 0
		.amdhsa_float_denorm_mode_32 3
		.amdhsa_float_denorm_mode_16_64 3
		.amdhsa_fp16_overflow 0
		.amdhsa_memory_ordered 1
		.amdhsa_forward_progress 1
		.amdhsa_inst_pref_size 9
		.amdhsa_round_robin_scheduling 0
		.amdhsa_exception_fp_ieee_invalid_op 0
		.amdhsa_exception_fp_denorm_src 0
		.amdhsa_exception_fp_ieee_div_zero 0
		.amdhsa_exception_fp_ieee_overflow 0
		.amdhsa_exception_fp_ieee_underflow 0
		.amdhsa_exception_fp_ieee_inexact 0
		.amdhsa_exception_int_div_zero 0
	.end_amdhsa_kernel
	.section	.text._ZN4vllm23rotary_embedding_kernelIfN3c108BFloat16ELb0EEEvPKlPT_S6_PKT0_illliiilb,"axG",@progbits,_ZN4vllm23rotary_embedding_kernelIfN3c108BFloat16ELb0EEEvPKlPT_S6_PKT0_illliiilb,comdat
.Lfunc_end5:
	.size	_ZN4vllm23rotary_embedding_kernelIfN3c108BFloat16ELb0EEEvPKlPT_S6_PKT0_illliiilb, .Lfunc_end5-_ZN4vllm23rotary_embedding_kernelIfN3c108BFloat16ELb0EEEvPKlPT_S6_PKT0_illliiilb
                                        ; -- End function
	.set _ZN4vllm23rotary_embedding_kernelIfN3c108BFloat16ELb0EEEvPKlPT_S6_PKT0_illliiilb.num_vgpr, 16
	.set _ZN4vllm23rotary_embedding_kernelIfN3c108BFloat16ELb0EEEvPKlPT_S6_PKT0_illliiilb.num_agpr, 0
	.set _ZN4vllm23rotary_embedding_kernelIfN3c108BFloat16ELb0EEEvPKlPT_S6_PKT0_illliiilb.numbered_sgpr, 34
	.set _ZN4vllm23rotary_embedding_kernelIfN3c108BFloat16ELb0EEEvPKlPT_S6_PKT0_illliiilb.num_named_barrier, 0
	.set _ZN4vllm23rotary_embedding_kernelIfN3c108BFloat16ELb0EEEvPKlPT_S6_PKT0_illliiilb.private_seg_size, 0
	.set _ZN4vllm23rotary_embedding_kernelIfN3c108BFloat16ELb0EEEvPKlPT_S6_PKT0_illliiilb.uses_vcc, 1
	.set _ZN4vllm23rotary_embedding_kernelIfN3c108BFloat16ELb0EEEvPKlPT_S6_PKT0_illliiilb.uses_flat_scratch, 0
	.set _ZN4vllm23rotary_embedding_kernelIfN3c108BFloat16ELb0EEEvPKlPT_S6_PKT0_illliiilb.has_dyn_sized_stack, 0
	.set _ZN4vllm23rotary_embedding_kernelIfN3c108BFloat16ELb0EEEvPKlPT_S6_PKT0_illliiilb.has_recursion, 0
	.set _ZN4vllm23rotary_embedding_kernelIfN3c108BFloat16ELb0EEEvPKlPT_S6_PKT0_illliiilb.has_indirect_call, 0
	.section	.AMDGPU.csdata,"",@progbits
; Kernel info:
; codeLenInByte = 1128
; TotalNumSgprs: 36
; NumVgprs: 16
; ScratchSize: 0
; MemoryBound: 0
; FloatMode: 240
; IeeeMode: 1
; LDSByteSize: 0 bytes/workgroup (compile time only)
; SGPRBlocks: 0
; VGPRBlocks: 0
; NumSGPRsForWavesPerEU: 36
; NumVGPRsForWavesPerEU: 16
; NamedBarCnt: 0
; Occupancy: 16
; WaveLimiterHint : 1
; COMPUTE_PGM_RSRC2:SCRATCH_EN: 0
; COMPUTE_PGM_RSRC2:USER_SGPR: 2
; COMPUTE_PGM_RSRC2:TRAP_HANDLER: 0
; COMPUTE_PGM_RSRC2:TGID_X_EN: 1
; COMPUTE_PGM_RSRC2:TGID_Y_EN: 0
; COMPUTE_PGM_RSRC2:TGID_Z_EN: 0
; COMPUTE_PGM_RSRC2:TIDIG_COMP_CNT: 0
	.section	.text._ZN4vllm23rotary_embedding_kernelIN3c104HalfEfLb1EEEvPKlPT_S6_PKT0_illliiilb,"axG",@progbits,_ZN4vllm23rotary_embedding_kernelIN3c104HalfEfLb1EEEvPKlPT_S6_PKT0_illliiilb,comdat
	.protected	_ZN4vllm23rotary_embedding_kernelIN3c104HalfEfLb1EEEvPKlPT_S6_PKT0_illliiilb ; -- Begin function _ZN4vllm23rotary_embedding_kernelIN3c104HalfEfLb1EEEvPKlPT_S6_PKT0_illliiilb
	.globl	_ZN4vllm23rotary_embedding_kernelIN3c104HalfEfLb1EEEvPKlPT_S6_PKT0_illliiilb
	.p2align	8
	.type	_ZN4vllm23rotary_embedding_kernelIN3c104HalfEfLb1EEEvPKlPT_S6_PKT0_illliiilb,@function
_ZN4vllm23rotary_embedding_kernelIN3c104HalfEfLb1EEEvPKlPT_S6_PKT0_illliiilb: ; @_ZN4vllm23rotary_embedding_kernelIN3c104HalfEfLb1EEEvPKlPT_S6_PKT0_illliiilb
; %bb.0:
	s_clause 0x2
	s_load_b96 s[16:18], s[0:1], 0x18
	s_load_b96 s[12:14], s[0:1], 0x50
	s_load_b64 s[2:3], s[0:1], 0x0
	s_getreg_b32 s6, hwreg(HW_REG_IB_STS2, 6, 4)
	s_mov_b32 s19, 0
	s_mov_b32 s23, exec_lo
	s_wait_kmcnt 0x0
	s_ashr_i32 s15, s18, 31
	s_bitcmp1_b32 s14, 0
	s_mov_b32 s14, s18
	s_cselect_b32 s22, -1, 0
	s_bfe_u32 s4, ttmp6, 0x4000c
	s_and_b32 s5, ttmp6, 15
	s_add_co_i32 s4, s4, 1
	s_delay_alu instid0(SALU_CYCLE_1) | instskip(NEXT) | instid1(SALU_CYCLE_1)
	s_mul_i32 s4, ttmp9, s4
	s_add_co_i32 s5, s5, s4
	s_cmp_eq_u32 s6, 0
	s_cselect_b32 s20, ttmp9, s5
	s_delay_alu instid0(SALU_CYCLE_1) | instskip(NEXT) | instid1(SALU_CYCLE_1)
	s_ashr_i32 s21, s20, 31
	s_lshl_b64 s[4:5], s[20:21], 3
	s_delay_alu instid0(SALU_CYCLE_1) | instskip(SKIP_4) | instid1(SALU_CYCLE_1)
	s_add_nc_u64 s[2:3], s[2:3], s[4:5]
	s_load_b64 s[24:25], s[2:3], 0x0
	s_load_b256 s[4:11], s[0:1], 0x28
	s_wait_xcnt 0x0
	s_lshr_b32 s2, s18, 31
	s_add_co_i32 s2, s18, s2
	s_delay_alu instid0(SALU_CYCLE_1) | instskip(NEXT) | instid1(SALU_CYCLE_1)
	s_ashr_i32 s2, s2, 1
	s_ashr_i32 s3, s2, 31
	s_wait_kmcnt 0x0
	s_mul_u64 s[14:15], s[24:25], s[14:15]
	s_mul_i32 s10, s10, s2
	s_lshl_b64 s[14:15], s[14:15], 2
	s_delay_alu instid0(SALU_CYCLE_1) | instskip(SKIP_1) | instid1(SALU_CYCLE_1)
	s_add_nc_u64 s[14:15], s[16:17], s[14:15]
	s_lshl_b64 s[16:17], s[2:3], 2
	s_add_nc_u64 s[16:17], s[14:15], s[16:17]
	v_cmpx_gt_i32_e64 s10, v0
	s_cbranch_execz .LBB6_3
; %bb.1:
	s_abs_i32 s24, s2
	s_load_b64 s[28:29], s[0:1], 0x8
	s_cvt_f32_u32 s18, s24
	s_mul_u64 s[4:5], s[4:5], s[20:21]
	v_mov_b32_e32 v3, 0
	s_lshl_b64 s[4:5], s[4:5], 1
	v_rcp_iflag_f32_e32 v1, s18
	s_load_b32 s18, s[0:1], 0x6c
	s_lshl_b64 s[30:31], s[12:13], 1
	s_ashr_i32 s25, s2, 31
	v_nop
	s_delay_alu instid0(TRANS32_DEP_1)
	v_readfirstlane_b32 s26, v1
	v_mov_b32_e32 v1, v0
	s_mul_f32 s27, s26, 0x4f7ffffe
	s_sub_co_i32 s26, 0, s2
	s_wait_kmcnt 0x0
	s_add_nc_u64 s[4:5], s[28:29], s[4:5]
	s_cvt_u32_f32 s33, s27
	s_sub_co_i32 s27, 0, s24
	s_add_nc_u64 s[4:5], s[4:5], s[30:31]
	s_delay_alu instid0(SALU_CYCLE_1)
	s_mul_i32 s28, s27, s33
	s_and_b32 s27, s18, 0xffff
	s_mul_hi_u32 s18, s33, s28
	s_mov_b32 s28, s19
	s_add_co_i32 s18, s33, s18
.LBB6_2:                                ; =>This Inner Loop Header: Depth=1
	v_sub_nc_u32_e32 v2, 0, v1
	s_delay_alu instid0(VALU_DEP_1) | instskip(NEXT) | instid1(VALU_DEP_1)
	v_max_i32_e32 v2, v1, v2
	v_mul_u64_e32 v[4:5], s[18:19], v[2:3]
	s_delay_alu instid0(VALU_DEP_1) | instskip(NEXT) | instid1(VALU_DEP_1)
	v_mul_lo_u32 v4, v5, s24
	v_dual_add_nc_u32 v6, 1, v5 :: v_dual_sub_nc_u32 v2, v2, v4
	s_delay_alu instid0(VALU_DEP_1) | instskip(NEXT) | instid1(VALU_DEP_2)
	v_cmp_le_u32_e32 vcc_lo, s24, v2
	v_dual_cndmask_b32 v5, v5, v6 :: v_dual_ashrrev_i32 v6, 31, v1
	v_subrev_nc_u32_e32 v4, s24, v2
	s_delay_alu instid0(VALU_DEP_1) | instskip(NEXT) | instid1(VALU_DEP_1)
	v_dual_cndmask_b32 v2, v2, v4, vcc_lo :: v_dual_add_nc_u32 v4, 1, v5
	v_cmp_le_u32_e32 vcc_lo, s24, v2
	s_delay_alu instid0(VALU_DEP_2) | instskip(NEXT) | instid1(VALU_DEP_1)
	v_dual_cndmask_b32 v2, v5, v4, vcc_lo :: v_dual_bitop2_b32 v6, s25, v6 bitop3:0x14
	v_xor_b32_e32 v2, v2, v6
	s_delay_alu instid0(VALU_DEP_1) | instskip(NEXT) | instid1(VALU_DEP_1)
	v_sub_nc_u32_e32 v4, v2, v6
	v_ashrrev_i32_e32 v5, 31, v4
	s_delay_alu instid0(VALU_DEP_1) | instskip(SKIP_2) | instid1(VALU_DEP_1)
	v_mul_u64_e32 v[6:7], s[8:9], v[4:5]
	v_mad_u32 v4, s26, v4, v1
	v_add_nc_u32_e32 v1, s27, v1
	v_cmp_le_i32_e32 vcc_lo, s10, v1
	s_or_b32 s28, vcc_lo, s28
	s_delay_alu instid0(VALU_DEP_3) | instskip(SKIP_1) | instid1(VALU_DEP_1)
	v_ashrrev_i32_e32 v5, 31, v4
	v_lshl_add_u64 v[6:7], v[6:7], 1, s[4:5]
	v_lshl_add_u64 v[6:7], v[4:5], 1, v[6:7]
	s_delay_alu instid0(VALU_DEP_1)
	v_lshl_add_u64 v[8:9], s[2:3], 1, v[6:7]
	s_clause 0x1
	global_load_b32 v2, v4, s[14:15] scale_offset
	global_load_b32 v5, v4, s[16:17] scale_offset
	s_clause 0x1
	global_load_u16 v10, v[6:7], off
	global_load_u16 v11, v[8:9], off
	s_wait_loadcnt 0x2
	s_wait_xcnt 0x2
	v_cndmask_b32_e64 v4, v5, -v5, s22
	s_wait_loadcnt 0x0
	v_cvt_f32_f16_e32 v5, v11
	s_delay_alu instid0(VALU_DEP_1) | instskip(NEXT) | instid1(VALU_DEP_1)
	v_dual_mul_f32 v11, v4, v5 :: v_dual_mul_f32 v5, v2, v5
	v_fma_mixlo_f16 v2, v2, v10, -v11 op_sel_hi:[0,1,0]
	s_delay_alu instid0(VALU_DEP_2)
	v_fma_mixlo_f16 v4, v4, v10, v5 op_sel_hi:[0,1,0]
	s_clause 0x1
	global_store_b16 v[6:7], v2, off
	global_store_b16 v[8:9], v4, off
	s_wait_xcnt 0x0
	s_and_not1_b32 exec_lo, exec_lo, s28
	s_cbranch_execnz .LBB6_2
.LBB6_3:
	s_or_b32 exec_lo, exec_lo, s23
	s_load_b64 s[4:5], s[0:1], 0x10
	s_wait_kmcnt 0x0
	s_cmp_lg_u64 s[4:5], 0
	s_cbranch_scc0 .LBB6_7
; %bb.4:
	s_mul_i32 s10, s11, s2
	s_mov_b32 s11, exec_lo
	v_cmpx_gt_i32_e64 s10, v0
	s_cbranch_execz .LBB6_7
; %bb.5:
	s_abs_i32 s11, s2
	s_load_b32 s0, s[0:1], 0x6c
	s_cvt_f32_u32 s18, s11
	s_lshl_b64 s[12:13], s[12:13], 1
	v_mov_b32_e32 v3, 0
	s_delay_alu instid0(SALU_CYCLE_1)
	v_rcp_iflag_f32_e32 v1, s18
	s_mul_u64 s[18:19], s[6:7], s[20:21]
	s_sub_co_i32 s21, 0, s11
	s_lshl_b64 s[18:19], s[18:19], 1
	s_ashr_i32 s6, s2, 31
	s_add_nc_u64 s[4:5], s[4:5], s[18:19]
	s_sub_co_i32 s7, 0, s2
	s_wait_xcnt 0x0
	v_nop
	v_readfirstlane_b32 s1, v1
	s_add_nc_u64 s[4:5], s[4:5], s[12:13]
	s_mul_f32 s20, s1, 0x4f7ffffe
	s_mov_b32 s1, 0
	s_wait_kmcnt 0x0
	s_and_b32 s12, s0, 0xffff
	s_cvt_u32_f32 s20, s20
	s_delay_alu instid0(SALU_CYCLE_3) | instskip(NEXT) | instid1(SALU_CYCLE_1)
	s_mul_i32 s21, s21, s20
	s_mul_hi_u32 s13, s20, s21
	s_delay_alu instid0(SALU_CYCLE_1)
	s_add_co_i32 s0, s20, s13
	s_mov_b32 s13, s1
.LBB6_6:                                ; =>This Inner Loop Header: Depth=1
	v_sub_nc_u32_e32 v1, 0, v0
	s_delay_alu instid0(VALU_DEP_1) | instskip(NEXT) | instid1(VALU_DEP_1)
	v_max_i32_e32 v2, v0, v1
	v_mul_u64_e32 v[4:5], s[0:1], v[2:3]
	s_delay_alu instid0(VALU_DEP_1) | instskip(SKIP_1) | instid1(VALU_DEP_2)
	v_mul_lo_u32 v1, v5, s11
	v_add_nc_u32_e32 v4, 1, v5
	v_sub_nc_u32_e32 v1, v2, v1
	s_delay_alu instid0(VALU_DEP_1) | instskip(NEXT) | instid1(VALU_DEP_3)
	v_cmp_le_u32_e32 vcc_lo, s11, v1
	v_cndmask_b32_e32 v4, v5, v4, vcc_lo
	v_ashrrev_i32_e32 v5, 31, v0
	v_subrev_nc_u32_e32 v2, s11, v1
	s_delay_alu instid0(VALU_DEP_1) | instskip(NEXT) | instid1(VALU_DEP_1)
	v_dual_cndmask_b32 v1, v1, v2 :: v_dual_add_nc_u32 v2, 1, v4
	v_cmp_le_u32_e32 vcc_lo, s11, v1
	s_delay_alu instid0(VALU_DEP_2) | instskip(NEXT) | instid1(VALU_DEP_1)
	v_dual_cndmask_b32 v1, v4, v2, vcc_lo :: v_dual_bitop2_b32 v5, s6, v5 bitop3:0x14
	v_xor_b32_e32 v1, v1, v5
	s_delay_alu instid0(VALU_DEP_1) | instskip(NEXT) | instid1(VALU_DEP_1)
	v_sub_nc_u32_e32 v4, v1, v5
	v_ashrrev_i32_e32 v5, 31, v4
	s_delay_alu instid0(VALU_DEP_1) | instskip(SKIP_2) | instid1(VALU_DEP_1)
	v_mul_u64_e32 v[6:7], s[8:9], v[4:5]
	v_mad_u32 v4, s7, v4, v0
	v_add_nc_u32_e32 v0, s12, v0
	v_cmp_le_i32_e32 vcc_lo, s10, v0
	s_or_b32 s13, vcc_lo, s13
	s_delay_alu instid0(VALU_DEP_3) | instskip(SKIP_1) | instid1(VALU_DEP_1)
	v_ashrrev_i32_e32 v5, 31, v4
	v_lshl_add_u64 v[6:7], v[6:7], 1, s[4:5]
	v_lshl_add_u64 v[6:7], v[4:5], 1, v[6:7]
	s_delay_alu instid0(VALU_DEP_1)
	v_lshl_add_u64 v[8:9], s[2:3], 1, v[6:7]
	s_clause 0x1
	global_load_b32 v1, v4, s[14:15] scale_offset
	global_load_b32 v2, v4, s[16:17] scale_offset
	s_clause 0x1
	global_load_u16 v5, v[6:7], off
	global_load_u16 v10, v[8:9], off
	s_wait_loadcnt 0x2
	v_cndmask_b32_e64 v2, v2, -v2, s22
	s_wait_loadcnt 0x0
	s_wait_xcnt 0x2
	v_cvt_f32_f16_e32 v4, v10
	s_delay_alu instid0(VALU_DEP_1) | instskip(NEXT) | instid1(VALU_DEP_1)
	v_dual_mul_f32 v10, v2, v4 :: v_dual_mul_f32 v4, v1, v4
	v_fma_mixlo_f16 v1, v1, v5, -v10 op_sel_hi:[0,1,0]
	s_delay_alu instid0(VALU_DEP_2)
	v_fma_mixlo_f16 v2, v2, v5, v4 op_sel_hi:[0,1,0]
	s_clause 0x1
	global_store_b16 v[6:7], v1, off
	global_store_b16 v[8:9], v2, off
	s_wait_xcnt 0x0
	s_and_not1_b32 exec_lo, exec_lo, s13
	s_cbranch_execnz .LBB6_6
.LBB6_7:
	s_endpgm
	.section	.rodata,"a",@progbits
	.p2align	6, 0x0
	.amdhsa_kernel _ZN4vllm23rotary_embedding_kernelIN3c104HalfEfLb1EEEvPKlPT_S6_PKT0_illliiilb
		.amdhsa_group_segment_fixed_size 0
		.amdhsa_private_segment_fixed_size 0
		.amdhsa_kernarg_size 352
		.amdhsa_user_sgpr_count 2
		.amdhsa_user_sgpr_dispatch_ptr 0
		.amdhsa_user_sgpr_queue_ptr 0
		.amdhsa_user_sgpr_kernarg_segment_ptr 1
		.amdhsa_user_sgpr_dispatch_id 0
		.amdhsa_user_sgpr_kernarg_preload_length 0
		.amdhsa_user_sgpr_kernarg_preload_offset 0
		.amdhsa_user_sgpr_private_segment_size 0
		.amdhsa_wavefront_size32 1
		.amdhsa_uses_dynamic_stack 0
		.amdhsa_enable_private_segment 0
		.amdhsa_system_sgpr_workgroup_id_x 1
		.amdhsa_system_sgpr_workgroup_id_y 0
		.amdhsa_system_sgpr_workgroup_id_z 0
		.amdhsa_system_sgpr_workgroup_info 0
		.amdhsa_system_vgpr_workitem_id 0
		.amdhsa_next_free_vgpr 12
		.amdhsa_next_free_sgpr 34
		.amdhsa_named_barrier_count 0
		.amdhsa_reserve_vcc 1
		.amdhsa_float_round_mode_32 0
		.amdhsa_float_round_mode_16_64 0
		.amdhsa_float_denorm_mode_32 3
		.amdhsa_float_denorm_mode_16_64 3
		.amdhsa_fp16_overflow 0
		.amdhsa_memory_ordered 1
		.amdhsa_forward_progress 1
		.amdhsa_inst_pref_size 9
		.amdhsa_round_robin_scheduling 0
		.amdhsa_exception_fp_ieee_invalid_op 0
		.amdhsa_exception_fp_denorm_src 0
		.amdhsa_exception_fp_ieee_div_zero 0
		.amdhsa_exception_fp_ieee_overflow 0
		.amdhsa_exception_fp_ieee_underflow 0
		.amdhsa_exception_fp_ieee_inexact 0
		.amdhsa_exception_int_div_zero 0
	.end_amdhsa_kernel
	.section	.text._ZN4vllm23rotary_embedding_kernelIN3c104HalfEfLb1EEEvPKlPT_S6_PKT0_illliiilb,"axG",@progbits,_ZN4vllm23rotary_embedding_kernelIN3c104HalfEfLb1EEEvPKlPT_S6_PKT0_illliiilb,comdat
.Lfunc_end6:
	.size	_ZN4vllm23rotary_embedding_kernelIN3c104HalfEfLb1EEEvPKlPT_S6_PKT0_illliiilb, .Lfunc_end6-_ZN4vllm23rotary_embedding_kernelIN3c104HalfEfLb1EEEvPKlPT_S6_PKT0_illliiilb
                                        ; -- End function
	.set _ZN4vllm23rotary_embedding_kernelIN3c104HalfEfLb1EEEvPKlPT_S6_PKT0_illliiilb.num_vgpr, 12
	.set _ZN4vllm23rotary_embedding_kernelIN3c104HalfEfLb1EEEvPKlPT_S6_PKT0_illliiilb.num_agpr, 0
	.set _ZN4vllm23rotary_embedding_kernelIN3c104HalfEfLb1EEEvPKlPT_S6_PKT0_illliiilb.numbered_sgpr, 34
	.set _ZN4vllm23rotary_embedding_kernelIN3c104HalfEfLb1EEEvPKlPT_S6_PKT0_illliiilb.num_named_barrier, 0
	.set _ZN4vllm23rotary_embedding_kernelIN3c104HalfEfLb1EEEvPKlPT_S6_PKT0_illliiilb.private_seg_size, 0
	.set _ZN4vllm23rotary_embedding_kernelIN3c104HalfEfLb1EEEvPKlPT_S6_PKT0_illliiilb.uses_vcc, 1
	.set _ZN4vllm23rotary_embedding_kernelIN3c104HalfEfLb1EEEvPKlPT_S6_PKT0_illliiilb.uses_flat_scratch, 0
	.set _ZN4vllm23rotary_embedding_kernelIN3c104HalfEfLb1EEEvPKlPT_S6_PKT0_illliiilb.has_dyn_sized_stack, 0
	.set _ZN4vllm23rotary_embedding_kernelIN3c104HalfEfLb1EEEvPKlPT_S6_PKT0_illliiilb.has_recursion, 0
	.set _ZN4vllm23rotary_embedding_kernelIN3c104HalfEfLb1EEEvPKlPT_S6_PKT0_illliiilb.has_indirect_call, 0
	.section	.AMDGPU.csdata,"",@progbits
; Kernel info:
; codeLenInByte = 1152
; TotalNumSgprs: 36
; NumVgprs: 12
; ScratchSize: 0
; MemoryBound: 0
; FloatMode: 240
; IeeeMode: 1
; LDSByteSize: 0 bytes/workgroup (compile time only)
; SGPRBlocks: 0
; VGPRBlocks: 0
; NumSGPRsForWavesPerEU: 36
; NumVGPRsForWavesPerEU: 12
; NamedBarCnt: 0
; Occupancy: 16
; WaveLimiterHint : 1
; COMPUTE_PGM_RSRC2:SCRATCH_EN: 0
; COMPUTE_PGM_RSRC2:USER_SGPR: 2
; COMPUTE_PGM_RSRC2:TRAP_HANDLER: 0
; COMPUTE_PGM_RSRC2:TGID_X_EN: 1
; COMPUTE_PGM_RSRC2:TGID_Y_EN: 0
; COMPUTE_PGM_RSRC2:TGID_Z_EN: 0
; COMPUTE_PGM_RSRC2:TIDIG_COMP_CNT: 0
	.section	.text._ZN4vllm23rotary_embedding_kernelIN3c104HalfEfLb0EEEvPKlPT_S6_PKT0_illliiilb,"axG",@progbits,_ZN4vllm23rotary_embedding_kernelIN3c104HalfEfLb0EEEvPKlPT_S6_PKT0_illliiilb,comdat
	.protected	_ZN4vllm23rotary_embedding_kernelIN3c104HalfEfLb0EEEvPKlPT_S6_PKT0_illliiilb ; -- Begin function _ZN4vllm23rotary_embedding_kernelIN3c104HalfEfLb0EEEvPKlPT_S6_PKT0_illliiilb
	.globl	_ZN4vllm23rotary_embedding_kernelIN3c104HalfEfLb0EEEvPKlPT_S6_PKT0_illliiilb
	.p2align	8
	.type	_ZN4vllm23rotary_embedding_kernelIN3c104HalfEfLb0EEEvPKlPT_S6_PKT0_illliiilb,@function
_ZN4vllm23rotary_embedding_kernelIN3c104HalfEfLb0EEEvPKlPT_S6_PKT0_illliiilb: ; @_ZN4vllm23rotary_embedding_kernelIN3c104HalfEfLb0EEEvPKlPT_S6_PKT0_illliiilb
; %bb.0:
	s_clause 0x2
	s_load_b96 s[16:18], s[0:1], 0x18
	s_load_b96 s[12:14], s[0:1], 0x50
	s_load_b64 s[2:3], s[0:1], 0x0
	s_getreg_b32 s6, hwreg(HW_REG_IB_STS2, 6, 4)
	s_mov_b32 s19, 0
	s_mov_b32 s23, exec_lo
	s_wait_kmcnt 0x0
	s_ashr_i32 s15, s18, 31
	s_bitcmp1_b32 s14, 0
	s_mov_b32 s14, s18
	s_cselect_b32 s22, -1, 0
	s_bfe_u32 s4, ttmp6, 0x4000c
	s_and_b32 s5, ttmp6, 15
	s_add_co_i32 s4, s4, 1
	s_delay_alu instid0(SALU_CYCLE_1) | instskip(NEXT) | instid1(SALU_CYCLE_1)
	s_mul_i32 s4, ttmp9, s4
	s_add_co_i32 s5, s5, s4
	s_cmp_eq_u32 s6, 0
	s_cselect_b32 s20, ttmp9, s5
	s_delay_alu instid0(SALU_CYCLE_1) | instskip(NEXT) | instid1(SALU_CYCLE_1)
	s_ashr_i32 s21, s20, 31
	s_lshl_b64 s[4:5], s[20:21], 3
	s_delay_alu instid0(SALU_CYCLE_1) | instskip(SKIP_4) | instid1(SALU_CYCLE_1)
	s_add_nc_u64 s[2:3], s[2:3], s[4:5]
	s_load_b64 s[24:25], s[2:3], 0x0
	s_load_b256 s[4:11], s[0:1], 0x28
	s_wait_xcnt 0x0
	s_lshr_b32 s2, s18, 31
	s_add_co_i32 s2, s18, s2
	s_delay_alu instid0(SALU_CYCLE_1) | instskip(NEXT) | instid1(SALU_CYCLE_1)
	s_ashr_i32 s2, s2, 1
	s_ashr_i32 s3, s2, 31
	s_wait_kmcnt 0x0
	s_mul_u64 s[14:15], s[24:25], s[14:15]
	s_mul_i32 s10, s10, s2
	s_lshl_b64 s[14:15], s[14:15], 2
	s_delay_alu instid0(SALU_CYCLE_1) | instskip(SKIP_1) | instid1(SALU_CYCLE_1)
	s_add_nc_u64 s[14:15], s[16:17], s[14:15]
	s_lshl_b64 s[16:17], s[2:3], 2
	s_add_nc_u64 s[16:17], s[14:15], s[16:17]
	v_cmpx_gt_i32_e64 s10, v0
	s_cbranch_execz .LBB7_3
; %bb.1:
	s_abs_i32 s24, s2
	s_clause 0x1
	s_load_b64 s[28:29], s[0:1], 0x8
	s_load_b32 s27, s[0:1], 0x6c
	s_cvt_f32_u32 s18, s24
	s_mul_u64 s[4:5], s[4:5], s[20:21]
	s_sub_co_i32 s33, 0, s24
	s_lshl_b64 s[4:5], s[4:5], 1
	v_rcp_iflag_f32_e32 v1, s18
	v_mov_b32_e32 v4, v0
	s_lshl_b64 s[30:31], s[12:13], 1
	s_lshl_b32 s26, s2, 1
	s_sub_co_i32 s25, 0, s2
	s_sub_co_i32 s26, 0, s26
	v_mov_b32_e32 v3, 0
	v_readfirstlane_b32 s18, v1
	v_lshlrev_b32_e32 v1, 1, v0
	s_mul_f32 s18, s18, 0x4f7ffffe
	s_wait_kmcnt 0x0
	s_add_nc_u64 s[4:5], s[28:29], s[4:5]
	s_and_b32 s27, s27, 0xffff
	s_cvt_u32_f32 s18, s18
	s_add_nc_u64 s[4:5], s[4:5], s[30:31]
	s_lshl_b32 s28, s27, 1
	s_delay_alu instid0(SALU_CYCLE_1) | instskip(NEXT) | instid1(SALU_CYCLE_1)
	s_mul_i32 s33, s33, s18
	s_mul_hi_u32 s29, s18, s33
	s_delay_alu instid0(SALU_CYCLE_1)
	s_add_co_i32 s18, s18, s29
	s_mov_b32 s29, s19
.LBB7_2:                                ; =>This Inner Loop Header: Depth=1
	v_sub_nc_u32_e32 v2, 0, v4
	s_delay_alu instid0(VALU_DEP_1) | instskip(NEXT) | instid1(VALU_DEP_1)
	v_max_i32_e32 v2, v4, v2
	v_mul_u64_e32 v[6:7], s[18:19], v[2:3]
	s_delay_alu instid0(VALU_DEP_1) | instskip(NEXT) | instid1(VALU_DEP_1)
	v_mul_lo_u32 v5, v7, s24
	v_dual_add_nc_u32 v6, 1, v7 :: v_dual_sub_nc_u32 v2, v2, v5
	s_delay_alu instid0(VALU_DEP_1) | instskip(NEXT) | instid1(VALU_DEP_2)
	v_cmp_le_u32_e32 vcc_lo, s24, v2
	v_cndmask_b32_e32 v6, v7, v6, vcc_lo
	v_subrev_nc_u32_e32 v5, s24, v2
	s_delay_alu instid0(VALU_DEP_1) | instskip(NEXT) | instid1(VALU_DEP_3)
	v_dual_cndmask_b32 v2, v2, v5 :: v_dual_ashrrev_i32 v7, 31, v4
	v_add_nc_u32_e32 v5, 1, v6
	s_delay_alu instid0(VALU_DEP_2) | instskip(NEXT) | instid1(VALU_DEP_2)
	v_cmp_le_u32_e32 vcc_lo, s24, v2
	v_dual_cndmask_b32 v2, v6, v5, vcc_lo :: v_dual_bitop2_b32 v7, s3, v7 bitop3:0x14
	s_delay_alu instid0(VALU_DEP_1) | instskip(NEXT) | instid1(VALU_DEP_1)
	v_xor_b32_e32 v2, v2, v7
	v_sub_nc_u32_e32 v6, v2, v7
	s_delay_alu instid0(VALU_DEP_1) | instskip(NEXT) | instid1(VALU_DEP_1)
	v_mad_u32 v10, s26, v6, v1
	v_dual_add_nc_u32 v1, s28, v1 :: v_dual_ashrrev_i32 v11, 31, v10
	v_ashrrev_i32_e32 v7, 31, v6
	v_mad_u32 v5, s25, v6, v4
	v_add_nc_u32_e32 v4, s27, v4
	s_delay_alu instid0(VALU_DEP_3) | instskip(NEXT) | instid1(VALU_DEP_2)
	v_mul_u64_e32 v[8:9], s[8:9], v[6:7]
	v_cmp_le_i32_e32 vcc_lo, s10, v4
	s_or_b32 s29, vcc_lo, s29
	s_delay_alu instid0(VALU_DEP_2) | instskip(NEXT) | instid1(VALU_DEP_1)
	v_lshl_add_u64 v[8:9], v[8:9], 1, s[4:5]
	v_lshl_add_u64 v[8:9], v[10:11], 1, v[8:9]
	global_load_b32 v6, v[8:9], off
	s_clause 0x1
	global_load_b32 v10, v5, s[16:17] scale_offset
	global_load_b32 v2, v5, s[14:15] scale_offset
	s_wait_loadcnt 0x2
	s_wait_xcnt 0x0
	v_lshrrev_b32_e32 v5, 16, v6
	v_cvt_f32_f16_e32 v6, v6
	s_delay_alu instid0(VALU_DEP_1) | instskip(NEXT) | instid1(VALU_DEP_3)
	v_mov_b32_e32 v13, v6
	v_cvt_f32_f16_e32 v7, v5
	s_wait_loadcnt 0x1
	s_delay_alu instid0(VALU_DEP_1) | instskip(NEXT) | instid1(VALU_DEP_1)
	v_dual_cndmask_b32 v10, v10, -v10, s22 :: v_dual_mov_b32 v12, v7
	v_pk_mul_f32 v[10:11], v[10:11], v[12:13] op_sel_hi:[0,1]
	s_wait_loadcnt 0x0
	s_delay_alu instid0(VALU_DEP_1) | instskip(SKIP_1) | instid1(VALU_DEP_1)
	v_pk_fma_f32 v[12:13], v[2:3], v[6:7], v[10:11] neg_lo:[0,0,1] neg_hi:[0,0,1]
	v_pk_fma_f32 v[6:7], v[2:3], v[6:7], v[10:11] op_sel_hi:[0,1,1]
	v_cvt_pk_f16_f32 v2, v12, v7
	global_store_b32 v[8:9], v2, off
	s_wait_xcnt 0x0
	s_and_not1_b32 exec_lo, exec_lo, s29
	s_cbranch_execnz .LBB7_2
.LBB7_3:
	s_or_b32 exec_lo, exec_lo, s23
	s_load_b64 s[4:5], s[0:1], 0x10
	s_wait_kmcnt 0x0
	s_cmp_lg_u64 s[4:5], 0
	s_cbranch_scc0 .LBB7_7
; %bb.4:
	s_mul_i32 s10, s11, s2
	s_mov_b32 s11, exec_lo
	v_cmpx_gt_i32_e64 s10, v0
	s_cbranch_execz .LBB7_7
; %bb.5:
	s_abs_i32 s11, s2
	s_load_b32 s0, s[0:1], 0x6c
	s_cvt_f32_u32 s18, s11
	s_lshl_b64 s[12:13], s[12:13], 1
	s_wait_xcnt 0x0
	s_mov_b32 s1, 0
	v_mov_b32_e32 v3, 0
	v_rcp_iflag_f32_e32 v1, s18
	s_mul_u64 s[18:19], s[6:7], s[20:21]
	s_sub_co_i32 s20, 0, s11
	s_lshl_b64 s[18:19], s[18:19], 1
	s_sub_co_i32 s6, 0, s2
	s_lshl_b32 s2, s2, 1
	s_add_nc_u64 s[4:5], s[4:5], s[18:19]
	v_nop
	v_readfirstlane_b32 s7, v1
	v_lshlrev_b32_e32 v1, 1, v0
	s_sub_co_i32 s2, 0, s2
	s_add_nc_u64 s[4:5], s[4:5], s[12:13]
	s_mov_b32 s13, s1
	s_mul_f32 s7, s7, 0x4f7ffffe
	s_delay_alu instid0(SALU_CYCLE_3) | instskip(SKIP_2) | instid1(SALU_CYCLE_1)
	s_cvt_u32_f32 s21, s7
	s_wait_kmcnt 0x0
	s_and_b32 s7, s0, 0xffff
	s_lshl_b32 s12, s7, 1
	s_mul_i32 s20, s20, s21
	s_delay_alu instid0(SALU_CYCLE_1) | instskip(NEXT) | instid1(SALU_CYCLE_1)
	s_mul_hi_u32 s0, s21, s20
	s_add_co_i32 s0, s21, s0
.LBB7_6:                                ; =>This Inner Loop Header: Depth=1
	v_sub_nc_u32_e32 v2, 0, v0
	s_delay_alu instid0(VALU_DEP_1) | instskip(NEXT) | instid1(VALU_DEP_1)
	v_max_i32_e32 v2, v0, v2
	v_mul_u64_e32 v[4:5], s[0:1], v[2:3]
	s_delay_alu instid0(VALU_DEP_1) | instskip(NEXT) | instid1(VALU_DEP_1)
	v_mul_lo_u32 v4, v5, s11
	v_dual_add_nc_u32 v6, 1, v5 :: v_dual_sub_nc_u32 v2, v2, v4
	s_delay_alu instid0(VALU_DEP_1) | instskip(NEXT) | instid1(VALU_DEP_2)
	v_cmp_le_u32_e32 vcc_lo, s11, v2
	v_cndmask_b32_e32 v5, v5, v6, vcc_lo
	v_subrev_nc_u32_e32 v4, s11, v2
	v_ashrrev_i32_e32 v6, 31, v0
	s_delay_alu instid0(VALU_DEP_2) | instskip(NEXT) | instid1(VALU_DEP_1)
	v_dual_cndmask_b32 v2, v2, v4, vcc_lo :: v_dual_add_nc_u32 v4, 1, v5
	v_cmp_le_u32_e32 vcc_lo, s11, v2
	s_delay_alu instid0(VALU_DEP_2) | instskip(NEXT) | instid1(VALU_DEP_1)
	v_dual_cndmask_b32 v2, v5, v4, vcc_lo :: v_dual_bitop2_b32 v6, s3, v6 bitop3:0x14
	v_xor_b32_e32 v2, v2, v6
	s_delay_alu instid0(VALU_DEP_1) | instskip(NEXT) | instid1(VALU_DEP_1)
	v_sub_nc_u32_e32 v4, v2, v6
	v_mad_u32 v8, s2, v4, v1
	s_delay_alu instid0(VALU_DEP_1) | instskip(SKIP_1) | instid1(VALU_DEP_1)
	v_dual_add_nc_u32 v1, s12, v1 :: v_dual_ashrrev_i32 v9, 31, v8
	v_ashrrev_i32_e32 v5, 31, v4
	v_mul_u64_e32 v[6:7], s[8:9], v[4:5]
	v_mad_u32 v4, s6, v4, v0
	v_add_nc_u32_e32 v0, s7, v0
	s_delay_alu instid0(VALU_DEP_1) | instskip(SKIP_1) | instid1(VALU_DEP_4)
	v_cmp_le_i32_e32 vcc_lo, s10, v0
	s_or_b32 s13, vcc_lo, s13
	v_lshl_add_u64 v[6:7], v[6:7], 1, s[4:5]
	s_delay_alu instid0(VALU_DEP_1)
	v_lshl_add_u64 v[6:7], v[8:9], 1, v[6:7]
	global_load_b32 v5, v[6:7], off
	s_clause 0x1
	global_load_b32 v8, v4, s[16:17] scale_offset
	global_load_b32 v2, v4, s[14:15] scale_offset
	s_wait_loadcnt 0x1
	v_dual_lshrrev_b32 v9, 16, v5 :: v_dual_cndmask_b32 v8, v8, -v8, s22
	s_wait_xcnt 0x0
	v_cvt_f32_f16_e32 v4, v5
	s_delay_alu instid0(VALU_DEP_2) | instskip(NEXT) | instid1(VALU_DEP_1)
	v_cvt_f32_f16_e32 v5, v9
	v_dual_mov_b32 v11, v4 :: v_dual_mov_b32 v10, v5
	s_delay_alu instid0(VALU_DEP_1) | instskip(SKIP_1) | instid1(VALU_DEP_1)
	v_pk_mul_f32 v[8:9], v[8:9], v[10:11] op_sel_hi:[0,1]
	s_wait_loadcnt 0x0
	v_pk_fma_f32 v[10:11], v[2:3], v[4:5], v[8:9] neg_lo:[0,0,1] neg_hi:[0,0,1]
	v_pk_fma_f32 v[4:5], v[2:3], v[4:5], v[8:9] op_sel_hi:[0,1,1]
	s_delay_alu instid0(VALU_DEP_1)
	v_cvt_pk_f16_f32 v2, v10, v5
	global_store_b32 v[6:7], v2, off
	s_wait_xcnt 0x0
	s_and_not1_b32 exec_lo, exec_lo, s13
	s_cbranch_execnz .LBB7_6
.LBB7_7:
	s_endpgm
	.section	.rodata,"a",@progbits
	.p2align	6, 0x0
	.amdhsa_kernel _ZN4vllm23rotary_embedding_kernelIN3c104HalfEfLb0EEEvPKlPT_S6_PKT0_illliiilb
		.amdhsa_group_segment_fixed_size 0
		.amdhsa_private_segment_fixed_size 0
		.amdhsa_kernarg_size 352
		.amdhsa_user_sgpr_count 2
		.amdhsa_user_sgpr_dispatch_ptr 0
		.amdhsa_user_sgpr_queue_ptr 0
		.amdhsa_user_sgpr_kernarg_segment_ptr 1
		.amdhsa_user_sgpr_dispatch_id 0
		.amdhsa_user_sgpr_kernarg_preload_length 0
		.amdhsa_user_sgpr_kernarg_preload_offset 0
		.amdhsa_user_sgpr_private_segment_size 0
		.amdhsa_wavefront_size32 1
		.amdhsa_uses_dynamic_stack 0
		.amdhsa_enable_private_segment 0
		.amdhsa_system_sgpr_workgroup_id_x 1
		.amdhsa_system_sgpr_workgroup_id_y 0
		.amdhsa_system_sgpr_workgroup_id_z 0
		.amdhsa_system_sgpr_workgroup_info 0
		.amdhsa_system_vgpr_workitem_id 0
		.amdhsa_next_free_vgpr 14
		.amdhsa_next_free_sgpr 34
		.amdhsa_named_barrier_count 0
		.amdhsa_reserve_vcc 1
		.amdhsa_float_round_mode_32 0
		.amdhsa_float_round_mode_16_64 0
		.amdhsa_float_denorm_mode_32 3
		.amdhsa_float_denorm_mode_16_64 3
		.amdhsa_fp16_overflow 0
		.amdhsa_memory_ordered 1
		.amdhsa_forward_progress 1
		.amdhsa_inst_pref_size 10
		.amdhsa_round_robin_scheduling 0
		.amdhsa_exception_fp_ieee_invalid_op 0
		.amdhsa_exception_fp_denorm_src 0
		.amdhsa_exception_fp_ieee_div_zero 0
		.amdhsa_exception_fp_ieee_overflow 0
		.amdhsa_exception_fp_ieee_underflow 0
		.amdhsa_exception_fp_ieee_inexact 0
		.amdhsa_exception_int_div_zero 0
	.end_amdhsa_kernel
	.section	.text._ZN4vllm23rotary_embedding_kernelIN3c104HalfEfLb0EEEvPKlPT_S6_PKT0_illliiilb,"axG",@progbits,_ZN4vllm23rotary_embedding_kernelIN3c104HalfEfLb0EEEvPKlPT_S6_PKT0_illliiilb,comdat
.Lfunc_end7:
	.size	_ZN4vllm23rotary_embedding_kernelIN3c104HalfEfLb0EEEvPKlPT_S6_PKT0_illliiilb, .Lfunc_end7-_ZN4vllm23rotary_embedding_kernelIN3c104HalfEfLb0EEEvPKlPT_S6_PKT0_illliiilb
                                        ; -- End function
	.set _ZN4vllm23rotary_embedding_kernelIN3c104HalfEfLb0EEEvPKlPT_S6_PKT0_illliiilb.num_vgpr, 14
	.set _ZN4vllm23rotary_embedding_kernelIN3c104HalfEfLb0EEEvPKlPT_S6_PKT0_illliiilb.num_agpr, 0
	.set _ZN4vllm23rotary_embedding_kernelIN3c104HalfEfLb0EEEvPKlPT_S6_PKT0_illliiilb.numbered_sgpr, 34
	.set _ZN4vllm23rotary_embedding_kernelIN3c104HalfEfLb0EEEvPKlPT_S6_PKT0_illliiilb.num_named_barrier, 0
	.set _ZN4vllm23rotary_embedding_kernelIN3c104HalfEfLb0EEEvPKlPT_S6_PKT0_illliiilb.private_seg_size, 0
	.set _ZN4vllm23rotary_embedding_kernelIN3c104HalfEfLb0EEEvPKlPT_S6_PKT0_illliiilb.uses_vcc, 1
	.set _ZN4vllm23rotary_embedding_kernelIN3c104HalfEfLb0EEEvPKlPT_S6_PKT0_illliiilb.uses_flat_scratch, 0
	.set _ZN4vllm23rotary_embedding_kernelIN3c104HalfEfLb0EEEvPKlPT_S6_PKT0_illliiilb.has_dyn_sized_stack, 0
	.set _ZN4vllm23rotary_embedding_kernelIN3c104HalfEfLb0EEEvPKlPT_S6_PKT0_illliiilb.has_recursion, 0
	.set _ZN4vllm23rotary_embedding_kernelIN3c104HalfEfLb0EEEvPKlPT_S6_PKT0_illliiilb.has_indirect_call, 0
	.section	.AMDGPU.csdata,"",@progbits
; Kernel info:
; codeLenInByte = 1180
; TotalNumSgprs: 36
; NumVgprs: 14
; ScratchSize: 0
; MemoryBound: 0
; FloatMode: 240
; IeeeMode: 1
; LDSByteSize: 0 bytes/workgroup (compile time only)
; SGPRBlocks: 0
; VGPRBlocks: 0
; NumSGPRsForWavesPerEU: 36
; NumVGPRsForWavesPerEU: 14
; NamedBarCnt: 0
; Occupancy: 16
; WaveLimiterHint : 1
; COMPUTE_PGM_RSRC2:SCRATCH_EN: 0
; COMPUTE_PGM_RSRC2:USER_SGPR: 2
; COMPUTE_PGM_RSRC2:TRAP_HANDLER: 0
; COMPUTE_PGM_RSRC2:TGID_X_EN: 1
; COMPUTE_PGM_RSRC2:TGID_Y_EN: 0
; COMPUTE_PGM_RSRC2:TGID_Z_EN: 0
; COMPUTE_PGM_RSRC2:TIDIG_COMP_CNT: 0
	.section	.text._ZN4vllm23rotary_embedding_kernelIN3c104HalfES2_Lb1EEEvPKlPT_S6_PKT0_illliiilb,"axG",@progbits,_ZN4vllm23rotary_embedding_kernelIN3c104HalfES2_Lb1EEEvPKlPT_S6_PKT0_illliiilb,comdat
	.protected	_ZN4vllm23rotary_embedding_kernelIN3c104HalfES2_Lb1EEEvPKlPT_S6_PKT0_illliiilb ; -- Begin function _ZN4vllm23rotary_embedding_kernelIN3c104HalfES2_Lb1EEEvPKlPT_S6_PKT0_illliiilb
	.globl	_ZN4vllm23rotary_embedding_kernelIN3c104HalfES2_Lb1EEEvPKlPT_S6_PKT0_illliiilb
	.p2align	8
	.type	_ZN4vllm23rotary_embedding_kernelIN3c104HalfES2_Lb1EEEvPKlPT_S6_PKT0_illliiilb,@function
_ZN4vllm23rotary_embedding_kernelIN3c104HalfES2_Lb1EEEvPKlPT_S6_PKT0_illliiilb: ; @_ZN4vllm23rotary_embedding_kernelIN3c104HalfES2_Lb1EEEvPKlPT_S6_PKT0_illliiilb
; %bb.0:
	s_clause 0x2
	s_load_b96 s[16:18], s[0:1], 0x18
	s_load_b96 s[12:14], s[0:1], 0x50
	s_load_b64 s[2:3], s[0:1], 0x0
	s_getreg_b32 s6, hwreg(HW_REG_IB_STS2, 6, 4)
	s_mov_b32 s19, 0
	s_mov_b32 s23, exec_lo
	s_wait_kmcnt 0x0
	s_ashr_i32 s15, s18, 31
	s_bitcmp1_b32 s14, 0
	s_mov_b32 s14, s18
	s_cselect_b32 s22, -1, 0
	s_bfe_u32 s4, ttmp6, 0x4000c
	s_and_b32 s5, ttmp6, 15
	s_add_co_i32 s4, s4, 1
	s_delay_alu instid0(SALU_CYCLE_1) | instskip(NEXT) | instid1(SALU_CYCLE_1)
	s_mul_i32 s4, ttmp9, s4
	s_add_co_i32 s5, s5, s4
	s_cmp_eq_u32 s6, 0
	s_cselect_b32 s20, ttmp9, s5
	s_delay_alu instid0(SALU_CYCLE_1) | instskip(NEXT) | instid1(SALU_CYCLE_1)
	s_ashr_i32 s21, s20, 31
	s_lshl_b64 s[4:5], s[20:21], 3
	s_delay_alu instid0(SALU_CYCLE_1) | instskip(SKIP_4) | instid1(SALU_CYCLE_1)
	s_add_nc_u64 s[2:3], s[2:3], s[4:5]
	s_load_b64 s[24:25], s[2:3], 0x0
	s_load_b256 s[4:11], s[0:1], 0x28
	s_wait_xcnt 0x0
	s_lshr_b32 s2, s18, 31
	s_add_co_i32 s2, s18, s2
	s_delay_alu instid0(SALU_CYCLE_1) | instskip(NEXT) | instid1(SALU_CYCLE_1)
	s_ashr_i32 s2, s2, 1
	s_ashr_i32 s3, s2, 31
	s_wait_kmcnt 0x0
	s_mul_u64 s[14:15], s[24:25], s[14:15]
	s_mul_i32 s10, s10, s2
	s_lshl_b64 s[14:15], s[14:15], 1
	s_delay_alu instid0(SALU_CYCLE_1) | instskip(SKIP_1) | instid1(SALU_CYCLE_1)
	s_add_nc_u64 s[14:15], s[16:17], s[14:15]
	s_lshl_b64 s[16:17], s[2:3], 1
	s_add_nc_u64 s[16:17], s[14:15], s[16:17]
	v_cmpx_gt_i32_e64 s10, v0
	s_cbranch_execz .LBB8_3
; %bb.1:
	s_abs_i32 s24, s2
	s_load_b64 s[28:29], s[0:1], 0x8
	s_cvt_f32_u32 s18, s24
	s_mul_u64 s[4:5], s[4:5], s[20:21]
	v_mov_b32_e32 v3, 0
	s_lshl_b64 s[4:5], s[4:5], 1
	v_rcp_iflag_f32_e32 v1, s18
	s_load_b32 s18, s[0:1], 0x6c
	s_lshl_b64 s[30:31], s[12:13], 1
	s_ashr_i32 s25, s2, 31
	v_nop
	s_delay_alu instid0(TRANS32_DEP_1)
	v_readfirstlane_b32 s26, v1
	v_mov_b32_e32 v1, v0
	s_mul_f32 s27, s26, 0x4f7ffffe
	s_sub_co_i32 s26, 0, s2
	s_wait_kmcnt 0x0
	s_add_nc_u64 s[4:5], s[28:29], s[4:5]
	s_cvt_u32_f32 s33, s27
	s_sub_co_i32 s27, 0, s24
	s_add_nc_u64 s[4:5], s[4:5], s[30:31]
	s_delay_alu instid0(SALU_CYCLE_1)
	s_mul_i32 s28, s27, s33
	s_and_b32 s27, s18, 0xffff
	s_mul_hi_u32 s18, s33, s28
	s_mov_b32 s28, s19
	s_add_co_i32 s18, s33, s18
.LBB8_2:                                ; =>This Inner Loop Header: Depth=1
	v_sub_nc_u32_e32 v2, 0, v1
	s_delay_alu instid0(VALU_DEP_1) | instskip(NEXT) | instid1(VALU_DEP_1)
	v_max_i32_e32 v2, v1, v2
	v_mul_u64_e32 v[4:5], s[18:19], v[2:3]
	s_delay_alu instid0(VALU_DEP_1) | instskip(NEXT) | instid1(VALU_DEP_1)
	v_mul_lo_u32 v4, v5, s24
	v_dual_add_nc_u32 v6, 1, v5 :: v_dual_sub_nc_u32 v2, v2, v4
	s_delay_alu instid0(VALU_DEP_1) | instskip(NEXT) | instid1(VALU_DEP_2)
	v_cmp_le_u32_e32 vcc_lo, s24, v2
	v_dual_cndmask_b32 v5, v5, v6 :: v_dual_ashrrev_i32 v6, 31, v1
	v_subrev_nc_u32_e32 v4, s24, v2
	s_delay_alu instid0(VALU_DEP_1) | instskip(NEXT) | instid1(VALU_DEP_1)
	v_dual_cndmask_b32 v2, v2, v4, vcc_lo :: v_dual_add_nc_u32 v4, 1, v5
	v_cmp_le_u32_e32 vcc_lo, s24, v2
	s_delay_alu instid0(VALU_DEP_2) | instskip(NEXT) | instid1(VALU_DEP_1)
	v_dual_cndmask_b32 v2, v5, v4, vcc_lo :: v_dual_bitop2_b32 v6, s25, v6 bitop3:0x14
	v_xor_b32_e32 v2, v2, v6
	s_delay_alu instid0(VALU_DEP_1) | instskip(NEXT) | instid1(VALU_DEP_1)
	v_sub_nc_u32_e32 v4, v2, v6
	v_ashrrev_i32_e32 v5, 31, v4
	s_delay_alu instid0(VALU_DEP_1)
	v_mul_u64_e32 v[6:7], s[8:9], v[4:5]
	v_mad_u32 v4, s26, v4, v1
	v_add_nc_u32_e32 v1, s27, v1
	s_clause 0x1
	global_load_u16 v2, v4, s[14:15] scale_offset
	global_load_u16 v8, v4, s[16:17] scale_offset
	v_ashrrev_i32_e32 v5, 31, v4
	v_cmp_le_i32_e32 vcc_lo, s10, v1
	s_or_b32 s28, vcc_lo, s28
	v_lshl_add_u64 v[6:7], v[6:7], 1, s[4:5]
	s_delay_alu instid0(VALU_DEP_1) | instskip(SKIP_1) | instid1(VALU_DEP_1)
	v_lshl_add_u64 v[6:7], v[4:5], 1, v[6:7]
	s_wait_xcnt 0x0
	v_lshl_add_u64 v[4:5], s[2:3], 1, v[6:7]
	s_clause 0x1
	global_load_u16 v9, v[6:7], off
	global_load_u16 v10, v[4:5], off
	s_wait_loadcnt 0x3
	v_cvt_f32_f16_e32 v11, v2
	s_wait_loadcnt 0x2
	v_cvt_f32_f16_e32 v8, v8
	s_delay_alu instid0(VALU_DEP_1) | instskip(SKIP_2) | instid1(VALU_DEP_1)
	v_cndmask_b32_e64 v8, v8, -v8, s22
	s_wait_loadcnt 0x0
	v_cvt_f32_f16_e32 v10, v10
	v_dual_mul_f32 v12, v8, v10 :: v_dual_mul_f32 v10, v11, v10
	s_delay_alu instid0(VALU_DEP_1) | instskip(NEXT) | instid1(VALU_DEP_2)
	v_fma_mixlo_f16 v2, v2, v9, -v12 op_sel_hi:[1,1,0]
	v_fma_mixlo_f16 v8, v8, v9, v10 op_sel_hi:[0,1,0]
	s_clause 0x1
	global_store_b16 v[6:7], v2, off
	global_store_b16 v[4:5], v8, off
	s_wait_xcnt 0x0
	s_and_not1_b32 exec_lo, exec_lo, s28
	s_cbranch_execnz .LBB8_2
.LBB8_3:
	s_or_b32 exec_lo, exec_lo, s23
	s_load_b64 s[4:5], s[0:1], 0x10
	s_wait_kmcnt 0x0
	s_cmp_lg_u64 s[4:5], 0
	s_cbranch_scc0 .LBB8_7
; %bb.4:
	s_mul_i32 s10, s11, s2
	s_mov_b32 s11, exec_lo
	v_cmpx_gt_i32_e64 s10, v0
	s_cbranch_execz .LBB8_7
; %bb.5:
	s_abs_i32 s11, s2
	s_load_b32 s0, s[0:1], 0x6c
	s_cvt_f32_u32 s18, s11
	s_lshl_b64 s[12:13], s[12:13], 1
	v_mov_b32_e32 v3, 0
	s_delay_alu instid0(SALU_CYCLE_1)
	v_rcp_iflag_f32_e32 v1, s18
	s_mul_u64 s[18:19], s[6:7], s[20:21]
	s_sub_co_i32 s21, 0, s11
	s_lshl_b64 s[18:19], s[18:19], 1
	s_ashr_i32 s6, s2, 31
	s_add_nc_u64 s[4:5], s[4:5], s[18:19]
	s_sub_co_i32 s7, 0, s2
	s_wait_xcnt 0x0
	v_nop
	v_readfirstlane_b32 s1, v1
	s_add_nc_u64 s[4:5], s[4:5], s[12:13]
	s_mul_f32 s20, s1, 0x4f7ffffe
	s_mov_b32 s1, 0
	s_wait_kmcnt 0x0
	s_and_b32 s12, s0, 0xffff
	s_cvt_u32_f32 s20, s20
	s_delay_alu instid0(SALU_CYCLE_3) | instskip(NEXT) | instid1(SALU_CYCLE_1)
	s_mul_i32 s21, s21, s20
	s_mul_hi_u32 s13, s20, s21
	s_delay_alu instid0(SALU_CYCLE_1)
	s_add_co_i32 s0, s20, s13
	s_mov_b32 s13, s1
.LBB8_6:                                ; =>This Inner Loop Header: Depth=1
	v_sub_nc_u32_e32 v1, 0, v0
	s_delay_alu instid0(VALU_DEP_1) | instskip(NEXT) | instid1(VALU_DEP_1)
	v_max_i32_e32 v2, v0, v1
	v_mul_u64_e32 v[4:5], s[0:1], v[2:3]
	s_delay_alu instid0(VALU_DEP_1) | instskip(SKIP_1) | instid1(VALU_DEP_2)
	v_mul_lo_u32 v1, v5, s11
	v_add_nc_u32_e32 v4, 1, v5
	v_sub_nc_u32_e32 v1, v2, v1
	s_delay_alu instid0(VALU_DEP_1) | instskip(NEXT) | instid1(VALU_DEP_3)
	v_cmp_le_u32_e32 vcc_lo, s11, v1
	v_cndmask_b32_e32 v4, v5, v4, vcc_lo
	v_ashrrev_i32_e32 v5, 31, v0
	v_subrev_nc_u32_e32 v2, s11, v1
	s_delay_alu instid0(VALU_DEP_1) | instskip(NEXT) | instid1(VALU_DEP_1)
	v_dual_cndmask_b32 v1, v1, v2 :: v_dual_add_nc_u32 v2, 1, v4
	v_cmp_le_u32_e32 vcc_lo, s11, v1
	s_delay_alu instid0(VALU_DEP_2) | instskip(NEXT) | instid1(VALU_DEP_1)
	v_dual_cndmask_b32 v1, v4, v2, vcc_lo :: v_dual_bitop2_b32 v5, s6, v5 bitop3:0x14
	v_xor_b32_e32 v1, v1, v5
	s_delay_alu instid0(VALU_DEP_1) | instskip(NEXT) | instid1(VALU_DEP_1)
	v_sub_nc_u32_e32 v4, v1, v5
	v_ashrrev_i32_e32 v5, 31, v4
	s_delay_alu instid0(VALU_DEP_1)
	v_mul_u64_e32 v[6:7], s[8:9], v[4:5]
	v_mad_u32 v4, s7, v4, v0
	s_clause 0x1
	global_load_u16 v1, v4, s[14:15] scale_offset
	global_load_u16 v2, v4, s[16:17] scale_offset
	v_lshl_add_u64 v[6:7], v[6:7], 1, s[4:5]
	s_wait_loadcnt 0x1
	v_cvt_f32_f16_e32 v10, v1
	s_wait_loadcnt 0x0
	v_cvt_f32_f16_e32 v2, v2
	s_delay_alu instid0(VALU_DEP_1) | instskip(NEXT) | instid1(VALU_DEP_1)
	v_dual_cndmask_b32 v2, v2, -v2, s22 :: v_dual_ashrrev_i32 v5, 31, v4
	v_lshl_add_u64 v[6:7], v[4:5], 1, v[6:7]
	s_wait_xcnt 0x0
	s_delay_alu instid0(VALU_DEP_1)
	v_lshl_add_u64 v[4:5], s[2:3], 1, v[6:7]
	s_clause 0x1
	global_load_u16 v8, v[6:7], off
	global_load_u16 v9, v[4:5], off
	s_wait_loadcnt 0x0
	v_cvt_f32_f16_e32 v9, v9
	s_delay_alu instid0(VALU_DEP_1) | instskip(SKIP_1) | instid1(VALU_DEP_2)
	v_dual_mul_f32 v11, v2, v9 :: v_dual_add_nc_u32 v0, s12, v0
	v_mul_f32_e32 v9, v10, v9
	v_cmp_le_i32_e32 vcc_lo, s10, v0
	s_delay_alu instid0(VALU_DEP_3) | instskip(NEXT) | instid1(VALU_DEP_3)
	v_fma_mixlo_f16 v1, v1, v8, -v11 op_sel_hi:[1,1,0]
	v_fma_mixlo_f16 v2, v2, v8, v9 op_sel_hi:[0,1,0]
	s_or_b32 s13, vcc_lo, s13
	s_clause 0x1
	global_store_b16 v[6:7], v1, off
	global_store_b16 v[4:5], v2, off
	s_wait_xcnt 0x0
	s_and_not1_b32 exec_lo, exec_lo, s13
	s_cbranch_execnz .LBB8_6
.LBB8_7:
	s_endpgm
	.section	.rodata,"a",@progbits
	.p2align	6, 0x0
	.amdhsa_kernel _ZN4vllm23rotary_embedding_kernelIN3c104HalfES2_Lb1EEEvPKlPT_S6_PKT0_illliiilb
		.amdhsa_group_segment_fixed_size 0
		.amdhsa_private_segment_fixed_size 0
		.amdhsa_kernarg_size 352
		.amdhsa_user_sgpr_count 2
		.amdhsa_user_sgpr_dispatch_ptr 0
		.amdhsa_user_sgpr_queue_ptr 0
		.amdhsa_user_sgpr_kernarg_segment_ptr 1
		.amdhsa_user_sgpr_dispatch_id 0
		.amdhsa_user_sgpr_kernarg_preload_length 0
		.amdhsa_user_sgpr_kernarg_preload_offset 0
		.amdhsa_user_sgpr_private_segment_size 0
		.amdhsa_wavefront_size32 1
		.amdhsa_uses_dynamic_stack 0
		.amdhsa_enable_private_segment 0
		.amdhsa_system_sgpr_workgroup_id_x 1
		.amdhsa_system_sgpr_workgroup_id_y 0
		.amdhsa_system_sgpr_workgroup_id_z 0
		.amdhsa_system_sgpr_workgroup_info 0
		.amdhsa_system_vgpr_workitem_id 0
		.amdhsa_next_free_vgpr 13
		.amdhsa_next_free_sgpr 34
		.amdhsa_named_barrier_count 0
		.amdhsa_reserve_vcc 1
		.amdhsa_float_round_mode_32 0
		.amdhsa_float_round_mode_16_64 0
		.amdhsa_float_denorm_mode_32 3
		.amdhsa_float_denorm_mode_16_64 3
		.amdhsa_fp16_overflow 0
		.amdhsa_memory_ordered 1
		.amdhsa_forward_progress 1
		.amdhsa_inst_pref_size 10
		.amdhsa_round_robin_scheduling 0
		.amdhsa_exception_fp_ieee_invalid_op 0
		.amdhsa_exception_fp_denorm_src 0
		.amdhsa_exception_fp_ieee_div_zero 0
		.amdhsa_exception_fp_ieee_overflow 0
		.amdhsa_exception_fp_ieee_underflow 0
		.amdhsa_exception_fp_ieee_inexact 0
		.amdhsa_exception_int_div_zero 0
	.end_amdhsa_kernel
	.section	.text._ZN4vllm23rotary_embedding_kernelIN3c104HalfES2_Lb1EEEvPKlPT_S6_PKT0_illliiilb,"axG",@progbits,_ZN4vllm23rotary_embedding_kernelIN3c104HalfES2_Lb1EEEvPKlPT_S6_PKT0_illliiilb,comdat
.Lfunc_end8:
	.size	_ZN4vllm23rotary_embedding_kernelIN3c104HalfES2_Lb1EEEvPKlPT_S6_PKT0_illliiilb, .Lfunc_end8-_ZN4vllm23rotary_embedding_kernelIN3c104HalfES2_Lb1EEEvPKlPT_S6_PKT0_illliiilb
                                        ; -- End function
	.set _ZN4vllm23rotary_embedding_kernelIN3c104HalfES2_Lb1EEEvPKlPT_S6_PKT0_illliiilb.num_vgpr, 13
	.set _ZN4vllm23rotary_embedding_kernelIN3c104HalfES2_Lb1EEEvPKlPT_S6_PKT0_illliiilb.num_agpr, 0
	.set _ZN4vllm23rotary_embedding_kernelIN3c104HalfES2_Lb1EEEvPKlPT_S6_PKT0_illliiilb.numbered_sgpr, 34
	.set _ZN4vllm23rotary_embedding_kernelIN3c104HalfES2_Lb1EEEvPKlPT_S6_PKT0_illliiilb.num_named_barrier, 0
	.set _ZN4vllm23rotary_embedding_kernelIN3c104HalfES2_Lb1EEEvPKlPT_S6_PKT0_illliiilb.private_seg_size, 0
	.set _ZN4vllm23rotary_embedding_kernelIN3c104HalfES2_Lb1EEEvPKlPT_S6_PKT0_illliiilb.uses_vcc, 1
	.set _ZN4vllm23rotary_embedding_kernelIN3c104HalfES2_Lb1EEEvPKlPT_S6_PKT0_illliiilb.uses_flat_scratch, 0
	.set _ZN4vllm23rotary_embedding_kernelIN3c104HalfES2_Lb1EEEvPKlPT_S6_PKT0_illliiilb.has_dyn_sized_stack, 0
	.set _ZN4vllm23rotary_embedding_kernelIN3c104HalfES2_Lb1EEEvPKlPT_S6_PKT0_illliiilb.has_recursion, 0
	.set _ZN4vllm23rotary_embedding_kernelIN3c104HalfES2_Lb1EEEvPKlPT_S6_PKT0_illliiilb.has_indirect_call, 0
	.section	.AMDGPU.csdata,"",@progbits
; Kernel info:
; codeLenInByte = 1168
; TotalNumSgprs: 36
; NumVgprs: 13
; ScratchSize: 0
; MemoryBound: 0
; FloatMode: 240
; IeeeMode: 1
; LDSByteSize: 0 bytes/workgroup (compile time only)
; SGPRBlocks: 0
; VGPRBlocks: 0
; NumSGPRsForWavesPerEU: 36
; NumVGPRsForWavesPerEU: 13
; NamedBarCnt: 0
; Occupancy: 16
; WaveLimiterHint : 1
; COMPUTE_PGM_RSRC2:SCRATCH_EN: 0
; COMPUTE_PGM_RSRC2:USER_SGPR: 2
; COMPUTE_PGM_RSRC2:TRAP_HANDLER: 0
; COMPUTE_PGM_RSRC2:TGID_X_EN: 1
; COMPUTE_PGM_RSRC2:TGID_Y_EN: 0
; COMPUTE_PGM_RSRC2:TGID_Z_EN: 0
; COMPUTE_PGM_RSRC2:TIDIG_COMP_CNT: 0
	.section	.text._ZN4vllm23rotary_embedding_kernelIN3c104HalfES2_Lb0EEEvPKlPT_S6_PKT0_illliiilb,"axG",@progbits,_ZN4vllm23rotary_embedding_kernelIN3c104HalfES2_Lb0EEEvPKlPT_S6_PKT0_illliiilb,comdat
	.protected	_ZN4vllm23rotary_embedding_kernelIN3c104HalfES2_Lb0EEEvPKlPT_S6_PKT0_illliiilb ; -- Begin function _ZN4vllm23rotary_embedding_kernelIN3c104HalfES2_Lb0EEEvPKlPT_S6_PKT0_illliiilb
	.globl	_ZN4vllm23rotary_embedding_kernelIN3c104HalfES2_Lb0EEEvPKlPT_S6_PKT0_illliiilb
	.p2align	8
	.type	_ZN4vllm23rotary_embedding_kernelIN3c104HalfES2_Lb0EEEvPKlPT_S6_PKT0_illliiilb,@function
_ZN4vllm23rotary_embedding_kernelIN3c104HalfES2_Lb0EEEvPKlPT_S6_PKT0_illliiilb: ; @_ZN4vllm23rotary_embedding_kernelIN3c104HalfES2_Lb0EEEvPKlPT_S6_PKT0_illliiilb
; %bb.0:
	s_clause 0x2
	s_load_b96 s[16:18], s[0:1], 0x18
	s_load_b96 s[12:14], s[0:1], 0x50
	s_load_b64 s[2:3], s[0:1], 0x0
	s_getreg_b32 s6, hwreg(HW_REG_IB_STS2, 6, 4)
	s_mov_b32 s19, 0
	s_mov_b32 s23, exec_lo
	s_wait_kmcnt 0x0
	s_ashr_i32 s15, s18, 31
	s_bitcmp1_b32 s14, 0
	s_mov_b32 s14, s18
	s_cselect_b32 s22, -1, 0
	s_bfe_u32 s4, ttmp6, 0x4000c
	s_and_b32 s5, ttmp6, 15
	s_add_co_i32 s4, s4, 1
	s_delay_alu instid0(SALU_CYCLE_1) | instskip(NEXT) | instid1(SALU_CYCLE_1)
	s_mul_i32 s4, ttmp9, s4
	s_add_co_i32 s5, s5, s4
	s_cmp_eq_u32 s6, 0
	s_cselect_b32 s20, ttmp9, s5
	s_delay_alu instid0(SALU_CYCLE_1) | instskip(NEXT) | instid1(SALU_CYCLE_1)
	s_ashr_i32 s21, s20, 31
	s_lshl_b64 s[4:5], s[20:21], 3
	s_delay_alu instid0(SALU_CYCLE_1) | instskip(SKIP_4) | instid1(SALU_CYCLE_1)
	s_add_nc_u64 s[2:3], s[2:3], s[4:5]
	s_load_b64 s[24:25], s[2:3], 0x0
	s_load_b256 s[4:11], s[0:1], 0x28
	s_wait_xcnt 0x0
	s_lshr_b32 s2, s18, 31
	s_add_co_i32 s2, s18, s2
	s_delay_alu instid0(SALU_CYCLE_1) | instskip(NEXT) | instid1(SALU_CYCLE_1)
	s_ashr_i32 s2, s2, 1
	s_ashr_i32 s3, s2, 31
	s_wait_kmcnt 0x0
	s_mul_u64 s[14:15], s[24:25], s[14:15]
	s_mul_i32 s10, s10, s2
	s_lshl_b64 s[14:15], s[14:15], 1
	s_delay_alu instid0(SALU_CYCLE_1) | instskip(SKIP_1) | instid1(SALU_CYCLE_1)
	s_add_nc_u64 s[14:15], s[16:17], s[14:15]
	s_lshl_b64 s[16:17], s[2:3], 1
	s_add_nc_u64 s[16:17], s[14:15], s[16:17]
	v_cmpx_gt_i32_e64 s10, v0
	s_cbranch_execz .LBB9_3
; %bb.1:
	s_abs_i32 s24, s2
	s_clause 0x1
	s_load_b64 s[28:29], s[0:1], 0x8
	s_load_b32 s27, s[0:1], 0x6c
	s_cvt_f32_u32 s18, s24
	s_mul_u64 s[4:5], s[4:5], s[20:21]
	s_sub_co_i32 s33, 0, s24
	s_lshl_b64 s[4:5], s[4:5], 1
	v_rcp_iflag_f32_e32 v1, s18
	v_mov_b32_e32 v4, v0
	s_lshl_b64 s[30:31], s[12:13], 1
	s_lshl_b32 s26, s2, 1
	s_sub_co_i32 s25, 0, s2
	s_sub_co_i32 s26, 0, s26
	v_mov_b32_e32 v3, 0
	v_readfirstlane_b32 s18, v1
	v_lshlrev_b32_e32 v1, 1, v0
	s_mul_f32 s18, s18, 0x4f7ffffe
	s_wait_kmcnt 0x0
	s_add_nc_u64 s[4:5], s[28:29], s[4:5]
	s_and_b32 s27, s27, 0xffff
	s_cvt_u32_f32 s18, s18
	s_add_nc_u64 s[4:5], s[4:5], s[30:31]
	s_lshl_b32 s28, s27, 1
	s_delay_alu instid0(SALU_CYCLE_1) | instskip(NEXT) | instid1(SALU_CYCLE_1)
	s_mul_i32 s33, s33, s18
	s_mul_hi_u32 s29, s18, s33
	s_delay_alu instid0(SALU_CYCLE_1)
	s_add_co_i32 s18, s18, s29
	s_mov_b32 s29, s19
.LBB9_2:                                ; =>This Inner Loop Header: Depth=1
	v_sub_nc_u32_e32 v2, 0, v4
	s_delay_alu instid0(VALU_DEP_1) | instskip(NEXT) | instid1(VALU_DEP_1)
	v_max_i32_e32 v2, v4, v2
	v_mul_u64_e32 v[6:7], s[18:19], v[2:3]
	s_delay_alu instid0(VALU_DEP_1) | instskip(NEXT) | instid1(VALU_DEP_1)
	v_mul_lo_u32 v5, v7, s24
	v_dual_add_nc_u32 v6, 1, v7 :: v_dual_sub_nc_u32 v2, v2, v5
	s_delay_alu instid0(VALU_DEP_1) | instskip(NEXT) | instid1(VALU_DEP_2)
	v_cmp_le_u32_e32 vcc_lo, s24, v2
	v_cndmask_b32_e32 v6, v7, v6, vcc_lo
	v_subrev_nc_u32_e32 v5, s24, v2
	s_delay_alu instid0(VALU_DEP_1) | instskip(NEXT) | instid1(VALU_DEP_3)
	v_dual_cndmask_b32 v2, v2, v5 :: v_dual_ashrrev_i32 v7, 31, v4
	v_add_nc_u32_e32 v5, 1, v6
	s_delay_alu instid0(VALU_DEP_2) | instskip(NEXT) | instid1(VALU_DEP_2)
	v_cmp_le_u32_e32 vcc_lo, s24, v2
	v_dual_cndmask_b32 v2, v6, v5, vcc_lo :: v_dual_bitop2_b32 v7, s3, v7 bitop3:0x14
	s_delay_alu instid0(VALU_DEP_1) | instskip(NEXT) | instid1(VALU_DEP_1)
	v_xor_b32_e32 v2, v2, v7
	v_sub_nc_u32_e32 v6, v2, v7
	s_delay_alu instid0(VALU_DEP_1) | instskip(NEXT) | instid1(VALU_DEP_1)
	v_mad_u32 v10, s26, v6, v1
	v_dual_add_nc_u32 v1, s28, v1 :: v_dual_ashrrev_i32 v11, 31, v10
	v_ashrrev_i32_e32 v7, 31, v6
	v_mad_u32 v2, s25, v6, v4
	v_add_nc_u32_e32 v4, s27, v4
	s_delay_alu instid0(VALU_DEP_3) | instskip(NEXT) | instid1(VALU_DEP_2)
	v_mul_u64_e32 v[8:9], s[8:9], v[6:7]
	v_cmp_le_i32_e32 vcc_lo, s10, v4
	s_or_b32 s29, vcc_lo, s29
	s_delay_alu instid0(VALU_DEP_2) | instskip(NEXT) | instid1(VALU_DEP_1)
	v_lshl_add_u64 v[8:9], v[8:9], 1, s[4:5]
	v_lshl_add_u64 v[6:7], v[10:11], 1, v[8:9]
	global_load_b32 v5, v[6:7], off
	s_clause 0x1
	global_load_u16 v8, v2, s[16:17] scale_offset
	global_load_u16 v12, v2, s[14:15] scale_offset
	s_wait_loadcnt 0x1
	v_cvt_f32_f16_e32 v10, v8
	v_cvt_f32_f16_e32 v8, v5
	s_wait_xcnt 0x0
	v_lshrrev_b32_e32 v2, 16, v5
	s_wait_loadcnt 0x0
	v_cvt_f32_f16_e32 v12, v12
	v_mov_b32_e32 v11, v8
	s_delay_alu instid0(VALU_DEP_3) | instskip(NEXT) | instid1(VALU_DEP_1)
	v_cvt_f32_f16_e32 v9, v2
	v_dual_cndmask_b32 v2, v10, -v10, s22 :: v_dual_mov_b32 v10, v9
	s_delay_alu instid0(VALU_DEP_1) | instskip(NEXT) | instid1(VALU_DEP_1)
	v_pk_mul_f32 v[10:11], v[2:3], v[10:11] op_sel_hi:[0,1]
	v_pk_fma_f32 v[14:15], v[12:13], v[8:9], v[10:11] neg_lo:[0,0,1] neg_hi:[0,0,1]
	v_pk_fma_f32 v[8:9], v[12:13], v[8:9], v[10:11] op_sel_hi:[0,1,1]
	s_delay_alu instid0(VALU_DEP_1)
	v_cvt_pk_f16_f32 v2, v14, v9
	global_store_b32 v[6:7], v2, off
	s_wait_xcnt 0x0
	s_and_not1_b32 exec_lo, exec_lo, s29
	s_cbranch_execnz .LBB9_2
.LBB9_3:
	s_or_b32 exec_lo, exec_lo, s23
	s_load_b64 s[4:5], s[0:1], 0x10
	s_wait_kmcnt 0x0
	s_cmp_lg_u64 s[4:5], 0
	s_cbranch_scc0 .LBB9_7
; %bb.4:
	s_mul_i32 s10, s11, s2
	s_mov_b32 s11, exec_lo
	v_cmpx_gt_i32_e64 s10, v0
	s_cbranch_execz .LBB9_7
; %bb.5:
	s_abs_i32 s11, s2
	s_load_b32 s0, s[0:1], 0x6c
	s_cvt_f32_u32 s18, s11
	s_lshl_b64 s[12:13], s[12:13], 1
	s_wait_xcnt 0x0
	s_mov_b32 s1, 0
	v_mov_b32_e32 v3, 0
	v_rcp_iflag_f32_e32 v1, s18
	s_mul_u64 s[18:19], s[6:7], s[20:21]
	s_sub_co_i32 s20, 0, s11
	s_lshl_b64 s[18:19], s[18:19], 1
	s_sub_co_i32 s6, 0, s2
	s_lshl_b32 s2, s2, 1
	s_add_nc_u64 s[4:5], s[4:5], s[18:19]
	v_nop
	v_readfirstlane_b32 s7, v1
	v_lshlrev_b32_e32 v1, 1, v0
	s_sub_co_i32 s2, 0, s2
	s_add_nc_u64 s[4:5], s[4:5], s[12:13]
	s_mov_b32 s13, s1
	s_mul_f32 s7, s7, 0x4f7ffffe
	s_delay_alu instid0(SALU_CYCLE_3) | instskip(SKIP_2) | instid1(SALU_CYCLE_1)
	s_cvt_u32_f32 s21, s7
	s_wait_kmcnt 0x0
	s_and_b32 s7, s0, 0xffff
	s_lshl_b32 s12, s7, 1
	s_mul_i32 s20, s20, s21
	s_delay_alu instid0(SALU_CYCLE_1) | instskip(NEXT) | instid1(SALU_CYCLE_1)
	s_mul_hi_u32 s0, s21, s20
	s_add_co_i32 s0, s21, s0
.LBB9_6:                                ; =>This Inner Loop Header: Depth=1
	v_sub_nc_u32_e32 v2, 0, v0
	s_delay_alu instid0(VALU_DEP_1) | instskip(NEXT) | instid1(VALU_DEP_1)
	v_max_i32_e32 v2, v0, v2
	v_mul_u64_e32 v[4:5], s[0:1], v[2:3]
	s_delay_alu instid0(VALU_DEP_1) | instskip(NEXT) | instid1(VALU_DEP_1)
	v_mul_lo_u32 v4, v5, s11
	v_dual_add_nc_u32 v6, 1, v5 :: v_dual_sub_nc_u32 v2, v2, v4
	s_delay_alu instid0(VALU_DEP_1) | instskip(NEXT) | instid1(VALU_DEP_2)
	v_cmp_le_u32_e32 vcc_lo, s11, v2
	v_cndmask_b32_e32 v5, v5, v6, vcc_lo
	v_subrev_nc_u32_e32 v4, s11, v2
	v_ashrrev_i32_e32 v6, 31, v0
	s_delay_alu instid0(VALU_DEP_2) | instskip(NEXT) | instid1(VALU_DEP_1)
	v_dual_cndmask_b32 v2, v2, v4, vcc_lo :: v_dual_add_nc_u32 v4, 1, v5
	v_cmp_le_u32_e32 vcc_lo, s11, v2
	s_delay_alu instid0(VALU_DEP_2) | instskip(NEXT) | instid1(VALU_DEP_1)
	v_dual_cndmask_b32 v2, v5, v4, vcc_lo :: v_dual_bitop2_b32 v6, s3, v6 bitop3:0x14
	v_xor_b32_e32 v2, v2, v6
	s_delay_alu instid0(VALU_DEP_1) | instskip(NEXT) | instid1(VALU_DEP_1)
	v_sub_nc_u32_e32 v4, v2, v6
	v_mad_u32 v8, s2, v4, v1
	s_delay_alu instid0(VALU_DEP_1) | instskip(SKIP_3) | instid1(VALU_DEP_3)
	v_dual_add_nc_u32 v1, s12, v1 :: v_dual_ashrrev_i32 v9, 31, v8
	v_ashrrev_i32_e32 v5, 31, v4
	v_mad_u32 v2, s6, v4, v0
	v_add_nc_u32_e32 v0, s7, v0
	v_mul_u64_e32 v[6:7], s[8:9], v[4:5]
	s_delay_alu instid0(VALU_DEP_2) | instskip(SKIP_1) | instid1(VALU_DEP_2)
	v_cmp_le_i32_e32 vcc_lo, s10, v0
	s_or_b32 s13, vcc_lo, s13
	v_lshl_add_u64 v[6:7], v[6:7], 1, s[4:5]
	s_delay_alu instid0(VALU_DEP_1)
	v_lshl_add_u64 v[4:5], v[8:9], 1, v[6:7]
	global_load_b32 v6, v[4:5], off
	s_clause 0x1
	global_load_u16 v7, v2, s[16:17] scale_offset
	global_load_u16 v10, v2, s[14:15] scale_offset
	s_wait_loadcnt 0x2
	s_wait_xcnt 0x0
	v_lshrrev_b32_e32 v2, 16, v6
	v_cvt_f32_f16_e32 v6, v6
	s_wait_loadcnt 0x1
	v_cvt_f32_f16_e32 v8, v7
	s_wait_loadcnt 0x0
	v_cvt_f32_f16_e32 v10, v10
	v_mov_b32_e32 v9, v6
	v_cvt_f32_f16_e32 v7, v2
	s_delay_alu instid0(VALU_DEP_1) | instskip(NEXT) | instid1(VALU_DEP_1)
	v_dual_cndmask_b32 v2, v8, -v8, s22 :: v_dual_mov_b32 v8, v7
	v_pk_mul_f32 v[8:9], v[2:3], v[8:9] op_sel_hi:[0,1]
	s_delay_alu instid0(VALU_DEP_1) | instskip(SKIP_1) | instid1(VALU_DEP_1)
	v_pk_fma_f32 v[12:13], v[10:11], v[6:7], v[8:9] neg_lo:[0,0,1] neg_hi:[0,0,1]
	v_pk_fma_f32 v[6:7], v[10:11], v[6:7], v[8:9] op_sel_hi:[0,1,1]
	v_cvt_pk_f16_f32 v2, v12, v7
	global_store_b32 v[4:5], v2, off
	s_wait_xcnt 0x0
	s_and_not1_b32 exec_lo, exec_lo, s13
	s_cbranch_execnz .LBB9_6
.LBB9_7:
	s_endpgm
	.section	.rodata,"a",@progbits
	.p2align	6, 0x0
	.amdhsa_kernel _ZN4vllm23rotary_embedding_kernelIN3c104HalfES2_Lb0EEEvPKlPT_S6_PKT0_illliiilb
		.amdhsa_group_segment_fixed_size 0
		.amdhsa_private_segment_fixed_size 0
		.amdhsa_kernarg_size 352
		.amdhsa_user_sgpr_count 2
		.amdhsa_user_sgpr_dispatch_ptr 0
		.amdhsa_user_sgpr_queue_ptr 0
		.amdhsa_user_sgpr_kernarg_segment_ptr 1
		.amdhsa_user_sgpr_dispatch_id 0
		.amdhsa_user_sgpr_kernarg_preload_length 0
		.amdhsa_user_sgpr_kernarg_preload_offset 0
		.amdhsa_user_sgpr_private_segment_size 0
		.amdhsa_wavefront_size32 1
		.amdhsa_uses_dynamic_stack 0
		.amdhsa_enable_private_segment 0
		.amdhsa_system_sgpr_workgroup_id_x 1
		.amdhsa_system_sgpr_workgroup_id_y 0
		.amdhsa_system_sgpr_workgroup_id_z 0
		.amdhsa_system_sgpr_workgroup_info 0
		.amdhsa_system_vgpr_workitem_id 0
		.amdhsa_next_free_vgpr 16
		.amdhsa_next_free_sgpr 34
		.amdhsa_named_barrier_count 0
		.amdhsa_reserve_vcc 1
		.amdhsa_float_round_mode_32 0
		.amdhsa_float_round_mode_16_64 0
		.amdhsa_float_denorm_mode_32 3
		.amdhsa_float_denorm_mode_16_64 3
		.amdhsa_fp16_overflow 0
		.amdhsa_memory_ordered 1
		.amdhsa_forward_progress 1
		.amdhsa_inst_pref_size 10
		.amdhsa_round_robin_scheduling 0
		.amdhsa_exception_fp_ieee_invalid_op 0
		.amdhsa_exception_fp_denorm_src 0
		.amdhsa_exception_fp_ieee_div_zero 0
		.amdhsa_exception_fp_ieee_overflow 0
		.amdhsa_exception_fp_ieee_underflow 0
		.amdhsa_exception_fp_ieee_inexact 0
		.amdhsa_exception_int_div_zero 0
	.end_amdhsa_kernel
	.section	.text._ZN4vllm23rotary_embedding_kernelIN3c104HalfES2_Lb0EEEvPKlPT_S6_PKT0_illliiilb,"axG",@progbits,_ZN4vllm23rotary_embedding_kernelIN3c104HalfES2_Lb0EEEvPKlPT_S6_PKT0_illliiilb,comdat
.Lfunc_end9:
	.size	_ZN4vllm23rotary_embedding_kernelIN3c104HalfES2_Lb0EEEvPKlPT_S6_PKT0_illliiilb, .Lfunc_end9-_ZN4vllm23rotary_embedding_kernelIN3c104HalfES2_Lb0EEEvPKlPT_S6_PKT0_illliiilb
                                        ; -- End function
	.set _ZN4vllm23rotary_embedding_kernelIN3c104HalfES2_Lb0EEEvPKlPT_S6_PKT0_illliiilb.num_vgpr, 16
	.set _ZN4vllm23rotary_embedding_kernelIN3c104HalfES2_Lb0EEEvPKlPT_S6_PKT0_illliiilb.num_agpr, 0
	.set _ZN4vllm23rotary_embedding_kernelIN3c104HalfES2_Lb0EEEvPKlPT_S6_PKT0_illliiilb.numbered_sgpr, 34
	.set _ZN4vllm23rotary_embedding_kernelIN3c104HalfES2_Lb0EEEvPKlPT_S6_PKT0_illliiilb.num_named_barrier, 0
	.set _ZN4vllm23rotary_embedding_kernelIN3c104HalfES2_Lb0EEEvPKlPT_S6_PKT0_illliiilb.private_seg_size, 0
	.set _ZN4vllm23rotary_embedding_kernelIN3c104HalfES2_Lb0EEEvPKlPT_S6_PKT0_illliiilb.uses_vcc, 1
	.set _ZN4vllm23rotary_embedding_kernelIN3c104HalfES2_Lb0EEEvPKlPT_S6_PKT0_illliiilb.uses_flat_scratch, 0
	.set _ZN4vllm23rotary_embedding_kernelIN3c104HalfES2_Lb0EEEvPKlPT_S6_PKT0_illliiilb.has_dyn_sized_stack, 0
	.set _ZN4vllm23rotary_embedding_kernelIN3c104HalfES2_Lb0EEEvPKlPT_S6_PKT0_illliiilb.has_recursion, 0
	.set _ZN4vllm23rotary_embedding_kernelIN3c104HalfES2_Lb0EEEvPKlPT_S6_PKT0_illliiilb.has_indirect_call, 0
	.section	.AMDGPU.csdata,"",@progbits
; Kernel info:
; codeLenInByte = 1192
; TotalNumSgprs: 36
; NumVgprs: 16
; ScratchSize: 0
; MemoryBound: 0
; FloatMode: 240
; IeeeMode: 1
; LDSByteSize: 0 bytes/workgroup (compile time only)
; SGPRBlocks: 0
; VGPRBlocks: 0
; NumSGPRsForWavesPerEU: 36
; NumVGPRsForWavesPerEU: 16
; NamedBarCnt: 0
; Occupancy: 16
; WaveLimiterHint : 1
; COMPUTE_PGM_RSRC2:SCRATCH_EN: 0
; COMPUTE_PGM_RSRC2:USER_SGPR: 2
; COMPUTE_PGM_RSRC2:TRAP_HANDLER: 0
; COMPUTE_PGM_RSRC2:TGID_X_EN: 1
; COMPUTE_PGM_RSRC2:TGID_Y_EN: 0
; COMPUTE_PGM_RSRC2:TGID_Z_EN: 0
; COMPUTE_PGM_RSRC2:TIDIG_COMP_CNT: 0
	.section	.text._ZN4vllm23rotary_embedding_kernelIN3c104HalfENS1_8BFloat16ELb1EEEvPKlPT_S7_PKT0_illliiilb,"axG",@progbits,_ZN4vllm23rotary_embedding_kernelIN3c104HalfENS1_8BFloat16ELb1EEEvPKlPT_S7_PKT0_illliiilb,comdat
	.protected	_ZN4vllm23rotary_embedding_kernelIN3c104HalfENS1_8BFloat16ELb1EEEvPKlPT_S7_PKT0_illliiilb ; -- Begin function _ZN4vllm23rotary_embedding_kernelIN3c104HalfENS1_8BFloat16ELb1EEEvPKlPT_S7_PKT0_illliiilb
	.globl	_ZN4vllm23rotary_embedding_kernelIN3c104HalfENS1_8BFloat16ELb1EEEvPKlPT_S7_PKT0_illliiilb
	.p2align	8
	.type	_ZN4vllm23rotary_embedding_kernelIN3c104HalfENS1_8BFloat16ELb1EEEvPKlPT_S7_PKT0_illliiilb,@function
_ZN4vllm23rotary_embedding_kernelIN3c104HalfENS1_8BFloat16ELb1EEEvPKlPT_S7_PKT0_illliiilb: ; @_ZN4vllm23rotary_embedding_kernelIN3c104HalfENS1_8BFloat16ELb1EEEvPKlPT_S7_PKT0_illliiilb
; %bb.0:
	s_clause 0x2
	s_load_b96 s[16:18], s[0:1], 0x18
	s_load_b96 s[12:14], s[0:1], 0x50
	s_load_b64 s[2:3], s[0:1], 0x0
	s_getreg_b32 s6, hwreg(HW_REG_IB_STS2, 6, 4)
	s_mov_b32 s19, 0
	s_mov_b32 s23, exec_lo
	s_wait_kmcnt 0x0
	s_ashr_i32 s15, s18, 31
	s_bitcmp1_b32 s14, 0
	s_mov_b32 s14, s18
	s_cselect_b32 s22, -1, 0
	s_bfe_u32 s4, ttmp6, 0x4000c
	s_and_b32 s5, ttmp6, 15
	s_add_co_i32 s4, s4, 1
	s_delay_alu instid0(SALU_CYCLE_1) | instskip(NEXT) | instid1(SALU_CYCLE_1)
	s_mul_i32 s4, ttmp9, s4
	s_add_co_i32 s5, s5, s4
	s_cmp_eq_u32 s6, 0
	s_cselect_b32 s20, ttmp9, s5
	s_delay_alu instid0(SALU_CYCLE_1) | instskip(NEXT) | instid1(SALU_CYCLE_1)
	s_ashr_i32 s21, s20, 31
	s_lshl_b64 s[4:5], s[20:21], 3
	s_delay_alu instid0(SALU_CYCLE_1) | instskip(SKIP_4) | instid1(SALU_CYCLE_1)
	s_add_nc_u64 s[2:3], s[2:3], s[4:5]
	s_load_b64 s[24:25], s[2:3], 0x0
	s_load_b256 s[4:11], s[0:1], 0x28
	s_wait_xcnt 0x0
	s_lshr_b32 s2, s18, 31
	s_add_co_i32 s2, s18, s2
	s_delay_alu instid0(SALU_CYCLE_1) | instskip(NEXT) | instid1(SALU_CYCLE_1)
	s_ashr_i32 s2, s2, 1
	s_ashr_i32 s3, s2, 31
	s_wait_kmcnt 0x0
	s_mul_u64 s[14:15], s[24:25], s[14:15]
	s_mul_i32 s10, s10, s2
	s_lshl_b64 s[14:15], s[14:15], 1
	s_delay_alu instid0(SALU_CYCLE_1) | instskip(SKIP_1) | instid1(SALU_CYCLE_1)
	s_add_nc_u64 s[14:15], s[16:17], s[14:15]
	s_lshl_b64 s[16:17], s[2:3], 1
	s_add_nc_u64 s[16:17], s[14:15], s[16:17]
	v_cmpx_gt_i32_e64 s10, v0
	s_cbranch_execz .LBB10_3
; %bb.1:
	s_abs_i32 s24, s2
	s_load_b64 s[28:29], s[0:1], 0x8
	s_cvt_f32_u32 s18, s24
	s_mul_u64 s[4:5], s[4:5], s[20:21]
	v_mov_b32_e32 v3, 0
	s_lshl_b64 s[4:5], s[4:5], 1
	v_rcp_iflag_f32_e32 v1, s18
	s_load_b32 s18, s[0:1], 0x6c
	s_lshl_b64 s[30:31], s[12:13], 1
	s_ashr_i32 s25, s2, 31
	v_nop
	s_delay_alu instid0(TRANS32_DEP_1)
	v_readfirstlane_b32 s26, v1
	v_mov_b32_e32 v1, v0
	s_mul_f32 s27, s26, 0x4f7ffffe
	s_sub_co_i32 s26, 0, s2
	s_wait_kmcnt 0x0
	s_add_nc_u64 s[4:5], s[28:29], s[4:5]
	s_cvt_u32_f32 s33, s27
	s_sub_co_i32 s27, 0, s24
	s_add_nc_u64 s[4:5], s[4:5], s[30:31]
	s_delay_alu instid0(SALU_CYCLE_1)
	s_mul_i32 s28, s27, s33
	s_and_b32 s27, s18, 0xffff
	s_mul_hi_u32 s18, s33, s28
	s_mov_b32 s28, s19
	s_add_co_i32 s18, s33, s18
.LBB10_2:                               ; =>This Inner Loop Header: Depth=1
	v_sub_nc_u32_e32 v2, 0, v1
	s_delay_alu instid0(VALU_DEP_1) | instskip(NEXT) | instid1(VALU_DEP_1)
	v_max_i32_e32 v2, v1, v2
	v_mul_u64_e32 v[4:5], s[18:19], v[2:3]
	s_delay_alu instid0(VALU_DEP_1) | instskip(NEXT) | instid1(VALU_DEP_1)
	v_mul_lo_u32 v4, v5, s24
	v_dual_add_nc_u32 v6, 1, v5 :: v_dual_sub_nc_u32 v2, v2, v4
	s_delay_alu instid0(VALU_DEP_1) | instskip(NEXT) | instid1(VALU_DEP_2)
	v_cmp_le_u32_e32 vcc_lo, s24, v2
	v_dual_cndmask_b32 v5, v5, v6 :: v_dual_ashrrev_i32 v6, 31, v1
	v_subrev_nc_u32_e32 v4, s24, v2
	s_delay_alu instid0(VALU_DEP_1) | instskip(NEXT) | instid1(VALU_DEP_1)
	v_dual_cndmask_b32 v2, v2, v4, vcc_lo :: v_dual_add_nc_u32 v4, 1, v5
	v_cmp_le_u32_e32 vcc_lo, s24, v2
	s_delay_alu instid0(VALU_DEP_2) | instskip(NEXT) | instid1(VALU_DEP_1)
	v_dual_cndmask_b32 v2, v5, v4, vcc_lo :: v_dual_bitop2_b32 v6, s25, v6 bitop3:0x14
	v_xor_b32_e32 v2, v2, v6
	s_delay_alu instid0(VALU_DEP_1) | instskip(NEXT) | instid1(VALU_DEP_1)
	v_sub_nc_u32_e32 v4, v2, v6
	v_ashrrev_i32_e32 v5, 31, v4
	s_delay_alu instid0(VALU_DEP_1)
	v_mul_u64_e32 v[6:7], s[8:9], v[4:5]
	v_mad_u32 v4, s26, v4, v1
	v_add_nc_u32_e32 v1, s27, v1
	s_clause 0x1
	global_load_u16 v2, v4, s[16:17] scale_offset
	global_load_u16 v8, v4, s[14:15] scale_offset
	v_ashrrev_i32_e32 v5, 31, v4
	v_cmp_le_i32_e32 vcc_lo, s10, v1
	s_or_b32 s28, vcc_lo, s28
	v_lshl_add_u64 v[6:7], v[6:7], 1, s[4:5]
	s_wait_loadcnt 0x1
	v_lshlrev_b32_e32 v2, 16, v2
	s_delay_alu instid0(VALU_DEP_2) | instskip(SKIP_1) | instid1(VALU_DEP_2)
	v_lshl_add_u64 v[6:7], v[4:5], 1, v[6:7]
	s_wait_loadcnt 0x0
	v_dual_lshlrev_b32 v8, 16, v8 :: v_dual_cndmask_b32 v2, v2, -v2, s22
	s_wait_xcnt 0x0
	s_delay_alu instid0(VALU_DEP_2)
	v_lshl_add_u64 v[4:5], s[2:3], 1, v[6:7]
	s_clause 0x1
	global_load_u16 v9, v[6:7], off
	global_load_u16 v10, v[4:5], off
	s_wait_loadcnt 0x1
	v_cvt_f32_f16_e32 v11, v9
	s_wait_loadcnt 0x0
	v_cvt_f32_f16_e32 v12, v10
	s_delay_alu instid0(VALU_DEP_1) | instskip(NEXT) | instid1(VALU_DEP_1)
	v_dual_mul_f32 v11, v2, v11 :: v_dual_mul_f32 v2, v2, v12
	v_fma_mixlo_f16 v10, v8, v10, v11 op_sel_hi:[0,1,0]
	s_delay_alu instid0(VALU_DEP_2)
	v_fma_mixlo_f16 v2, v9, v8, -v2 op_sel_hi:[1,0,0]
	s_clause 0x1
	global_store_b16 v[6:7], v2, off
	global_store_b16 v[4:5], v10, off
	s_wait_xcnt 0x0
	s_and_not1_b32 exec_lo, exec_lo, s28
	s_cbranch_execnz .LBB10_2
.LBB10_3:
	s_or_b32 exec_lo, exec_lo, s23
	s_load_b64 s[4:5], s[0:1], 0x10
	s_wait_kmcnt 0x0
	s_cmp_lg_u64 s[4:5], 0
	s_cbranch_scc0 .LBB10_7
; %bb.4:
	s_mul_i32 s10, s11, s2
	s_mov_b32 s11, exec_lo
	v_cmpx_gt_i32_e64 s10, v0
	s_cbranch_execz .LBB10_7
; %bb.5:
	s_abs_i32 s11, s2
	s_load_b32 s0, s[0:1], 0x6c
	s_cvt_f32_u32 s18, s11
	s_lshl_b64 s[12:13], s[12:13], 1
	v_mov_b32_e32 v3, 0
	s_delay_alu instid0(SALU_CYCLE_1)
	v_rcp_iflag_f32_e32 v1, s18
	s_mul_u64 s[18:19], s[6:7], s[20:21]
	s_sub_co_i32 s21, 0, s11
	s_lshl_b64 s[18:19], s[18:19], 1
	s_ashr_i32 s6, s2, 31
	s_add_nc_u64 s[4:5], s[4:5], s[18:19]
	s_sub_co_i32 s7, 0, s2
	s_wait_xcnt 0x0
	v_nop
	v_readfirstlane_b32 s1, v1
	s_add_nc_u64 s[4:5], s[4:5], s[12:13]
	s_mul_f32 s20, s1, 0x4f7ffffe
	s_mov_b32 s1, 0
	s_wait_kmcnt 0x0
	s_and_b32 s12, s0, 0xffff
	s_cvt_u32_f32 s20, s20
	s_delay_alu instid0(SALU_CYCLE_3) | instskip(NEXT) | instid1(SALU_CYCLE_1)
	s_mul_i32 s21, s21, s20
	s_mul_hi_u32 s13, s20, s21
	s_delay_alu instid0(SALU_CYCLE_1)
	s_add_co_i32 s0, s20, s13
	s_mov_b32 s13, s1
.LBB10_6:                               ; =>This Inner Loop Header: Depth=1
	v_sub_nc_u32_e32 v1, 0, v0
	s_delay_alu instid0(VALU_DEP_1) | instskip(NEXT) | instid1(VALU_DEP_1)
	v_max_i32_e32 v2, v0, v1
	v_mul_u64_e32 v[4:5], s[0:1], v[2:3]
	s_delay_alu instid0(VALU_DEP_1) | instskip(SKIP_1) | instid1(VALU_DEP_2)
	v_mul_lo_u32 v1, v5, s11
	v_add_nc_u32_e32 v4, 1, v5
	v_sub_nc_u32_e32 v1, v2, v1
	s_delay_alu instid0(VALU_DEP_1) | instskip(NEXT) | instid1(VALU_DEP_3)
	v_cmp_le_u32_e32 vcc_lo, s11, v1
	v_cndmask_b32_e32 v4, v5, v4, vcc_lo
	v_ashrrev_i32_e32 v5, 31, v0
	v_subrev_nc_u32_e32 v2, s11, v1
	s_delay_alu instid0(VALU_DEP_1) | instskip(NEXT) | instid1(VALU_DEP_1)
	v_dual_cndmask_b32 v1, v1, v2 :: v_dual_add_nc_u32 v2, 1, v4
	v_cmp_le_u32_e32 vcc_lo, s11, v1
	s_delay_alu instid0(VALU_DEP_2) | instskip(NEXT) | instid1(VALU_DEP_1)
	v_dual_cndmask_b32 v1, v4, v2, vcc_lo :: v_dual_bitop2_b32 v5, s6, v5 bitop3:0x14
	v_xor_b32_e32 v1, v1, v5
	s_delay_alu instid0(VALU_DEP_1) | instskip(NEXT) | instid1(VALU_DEP_1)
	v_sub_nc_u32_e32 v4, v1, v5
	v_ashrrev_i32_e32 v5, 31, v4
	s_delay_alu instid0(VALU_DEP_1)
	v_mul_u64_e32 v[6:7], s[8:9], v[4:5]
	v_mad_u32 v4, s7, v4, v0
	v_add_nc_u32_e32 v0, s12, v0
	s_clause 0x1
	global_load_u16 v1, v4, s[16:17] scale_offset
	global_load_u16 v2, v4, s[14:15] scale_offset
	v_ashrrev_i32_e32 v5, 31, v4
	v_cmp_le_i32_e32 vcc_lo, s10, v0
	s_or_b32 s13, vcc_lo, s13
	v_lshl_add_u64 v[6:7], v[6:7], 1, s[4:5]
	s_wait_loadcnt 0x1
	v_lshlrev_b32_e32 v1, 16, v1
	s_delay_alu instid0(VALU_DEP_2) | instskip(SKIP_1) | instid1(VALU_DEP_2)
	v_lshl_add_u64 v[6:7], v[4:5], 1, v[6:7]
	s_wait_loadcnt 0x0
	v_dual_lshlrev_b32 v2, 16, v2 :: v_dual_cndmask_b32 v1, v1, -v1, s22
	s_wait_xcnt 0x0
	s_delay_alu instid0(VALU_DEP_2)
	v_lshl_add_u64 v[4:5], s[2:3], 1, v[6:7]
	s_clause 0x1
	global_load_u16 v8, v[6:7], off
	global_load_u16 v9, v[4:5], off
	s_wait_loadcnt 0x1
	v_cvt_f32_f16_e32 v10, v8
	s_wait_loadcnt 0x0
	v_cvt_f32_f16_e32 v11, v9
	s_delay_alu instid0(VALU_DEP_1) | instskip(NEXT) | instid1(VALU_DEP_1)
	v_dual_mul_f32 v10, v1, v10 :: v_dual_mul_f32 v1, v1, v11
	v_fma_mixlo_f16 v9, v2, v9, v10 op_sel_hi:[0,1,0]
	s_delay_alu instid0(VALU_DEP_2)
	v_fma_mixlo_f16 v1, v8, v2, -v1 op_sel_hi:[1,0,0]
	s_clause 0x1
	global_store_b16 v[6:7], v1, off
	global_store_b16 v[4:5], v9, off
	s_wait_xcnt 0x0
	s_and_not1_b32 exec_lo, exec_lo, s13
	s_cbranch_execnz .LBB10_6
.LBB10_7:
	s_endpgm
	.section	.rodata,"a",@progbits
	.p2align	6, 0x0
	.amdhsa_kernel _ZN4vllm23rotary_embedding_kernelIN3c104HalfENS1_8BFloat16ELb1EEEvPKlPT_S7_PKT0_illliiilb
		.amdhsa_group_segment_fixed_size 0
		.amdhsa_private_segment_fixed_size 0
		.amdhsa_kernarg_size 352
		.amdhsa_user_sgpr_count 2
		.amdhsa_user_sgpr_dispatch_ptr 0
		.amdhsa_user_sgpr_queue_ptr 0
		.amdhsa_user_sgpr_kernarg_segment_ptr 1
		.amdhsa_user_sgpr_dispatch_id 0
		.amdhsa_user_sgpr_kernarg_preload_length 0
		.amdhsa_user_sgpr_kernarg_preload_offset 0
		.amdhsa_user_sgpr_private_segment_size 0
		.amdhsa_wavefront_size32 1
		.amdhsa_uses_dynamic_stack 0
		.amdhsa_enable_private_segment 0
		.amdhsa_system_sgpr_workgroup_id_x 1
		.amdhsa_system_sgpr_workgroup_id_y 0
		.amdhsa_system_sgpr_workgroup_id_z 0
		.amdhsa_system_sgpr_workgroup_info 0
		.amdhsa_system_vgpr_workitem_id 0
		.amdhsa_next_free_vgpr 13
		.amdhsa_next_free_sgpr 34
		.amdhsa_named_barrier_count 0
		.amdhsa_reserve_vcc 1
		.amdhsa_float_round_mode_32 0
		.amdhsa_float_round_mode_16_64 0
		.amdhsa_float_denorm_mode_32 3
		.amdhsa_float_denorm_mode_16_64 3
		.amdhsa_fp16_overflow 0
		.amdhsa_memory_ordered 1
		.amdhsa_forward_progress 1
		.amdhsa_inst_pref_size 10
		.amdhsa_round_robin_scheduling 0
		.amdhsa_exception_fp_ieee_invalid_op 0
		.amdhsa_exception_fp_denorm_src 0
		.amdhsa_exception_fp_ieee_div_zero 0
		.amdhsa_exception_fp_ieee_overflow 0
		.amdhsa_exception_fp_ieee_underflow 0
		.amdhsa_exception_fp_ieee_inexact 0
		.amdhsa_exception_int_div_zero 0
	.end_amdhsa_kernel
	.section	.text._ZN4vllm23rotary_embedding_kernelIN3c104HalfENS1_8BFloat16ELb1EEEvPKlPT_S7_PKT0_illliiilb,"axG",@progbits,_ZN4vllm23rotary_embedding_kernelIN3c104HalfENS1_8BFloat16ELb1EEEvPKlPT_S7_PKT0_illliiilb,comdat
.Lfunc_end10:
	.size	_ZN4vllm23rotary_embedding_kernelIN3c104HalfENS1_8BFloat16ELb1EEEvPKlPT_S7_PKT0_illliiilb, .Lfunc_end10-_ZN4vllm23rotary_embedding_kernelIN3c104HalfENS1_8BFloat16ELb1EEEvPKlPT_S7_PKT0_illliiilb
                                        ; -- End function
	.set _ZN4vllm23rotary_embedding_kernelIN3c104HalfENS1_8BFloat16ELb1EEEvPKlPT_S7_PKT0_illliiilb.num_vgpr, 13
	.set _ZN4vllm23rotary_embedding_kernelIN3c104HalfENS1_8BFloat16ELb1EEEvPKlPT_S7_PKT0_illliiilb.num_agpr, 0
	.set _ZN4vllm23rotary_embedding_kernelIN3c104HalfENS1_8BFloat16ELb1EEEvPKlPT_S7_PKT0_illliiilb.numbered_sgpr, 34
	.set _ZN4vllm23rotary_embedding_kernelIN3c104HalfENS1_8BFloat16ELb1EEEvPKlPT_S7_PKT0_illliiilb.num_named_barrier, 0
	.set _ZN4vllm23rotary_embedding_kernelIN3c104HalfENS1_8BFloat16ELb1EEEvPKlPT_S7_PKT0_illliiilb.private_seg_size, 0
	.set _ZN4vllm23rotary_embedding_kernelIN3c104HalfENS1_8BFloat16ELb1EEEvPKlPT_S7_PKT0_illliiilb.uses_vcc, 1
	.set _ZN4vllm23rotary_embedding_kernelIN3c104HalfENS1_8BFloat16ELb1EEEvPKlPT_S7_PKT0_illliiilb.uses_flat_scratch, 0
	.set _ZN4vllm23rotary_embedding_kernelIN3c104HalfENS1_8BFloat16ELb1EEEvPKlPT_S7_PKT0_illliiilb.has_dyn_sized_stack, 0
	.set _ZN4vllm23rotary_embedding_kernelIN3c104HalfENS1_8BFloat16ELb1EEEvPKlPT_S7_PKT0_illliiilb.has_recursion, 0
	.set _ZN4vllm23rotary_embedding_kernelIN3c104HalfENS1_8BFloat16ELb1EEEvPKlPT_S7_PKT0_illliiilb.has_indirect_call, 0
	.section	.AMDGPU.csdata,"",@progbits
; Kernel info:
; codeLenInByte = 1184
; TotalNumSgprs: 36
; NumVgprs: 13
; ScratchSize: 0
; MemoryBound: 0
; FloatMode: 240
; IeeeMode: 1
; LDSByteSize: 0 bytes/workgroup (compile time only)
; SGPRBlocks: 0
; VGPRBlocks: 0
; NumSGPRsForWavesPerEU: 36
; NumVGPRsForWavesPerEU: 13
; NamedBarCnt: 0
; Occupancy: 16
; WaveLimiterHint : 1
; COMPUTE_PGM_RSRC2:SCRATCH_EN: 0
; COMPUTE_PGM_RSRC2:USER_SGPR: 2
; COMPUTE_PGM_RSRC2:TRAP_HANDLER: 0
; COMPUTE_PGM_RSRC2:TGID_X_EN: 1
; COMPUTE_PGM_RSRC2:TGID_Y_EN: 0
; COMPUTE_PGM_RSRC2:TGID_Z_EN: 0
; COMPUTE_PGM_RSRC2:TIDIG_COMP_CNT: 0
	.section	.text._ZN4vllm23rotary_embedding_kernelIN3c104HalfENS1_8BFloat16ELb0EEEvPKlPT_S7_PKT0_illliiilb,"axG",@progbits,_ZN4vllm23rotary_embedding_kernelIN3c104HalfENS1_8BFloat16ELb0EEEvPKlPT_S7_PKT0_illliiilb,comdat
	.protected	_ZN4vllm23rotary_embedding_kernelIN3c104HalfENS1_8BFloat16ELb0EEEvPKlPT_S7_PKT0_illliiilb ; -- Begin function _ZN4vllm23rotary_embedding_kernelIN3c104HalfENS1_8BFloat16ELb0EEEvPKlPT_S7_PKT0_illliiilb
	.globl	_ZN4vllm23rotary_embedding_kernelIN3c104HalfENS1_8BFloat16ELb0EEEvPKlPT_S7_PKT0_illliiilb
	.p2align	8
	.type	_ZN4vllm23rotary_embedding_kernelIN3c104HalfENS1_8BFloat16ELb0EEEvPKlPT_S7_PKT0_illliiilb,@function
_ZN4vllm23rotary_embedding_kernelIN3c104HalfENS1_8BFloat16ELb0EEEvPKlPT_S7_PKT0_illliiilb: ; @_ZN4vllm23rotary_embedding_kernelIN3c104HalfENS1_8BFloat16ELb0EEEvPKlPT_S7_PKT0_illliiilb
; %bb.0:
	s_clause 0x2
	s_load_b96 s[16:18], s[0:1], 0x18
	s_load_b96 s[12:14], s[0:1], 0x50
	s_load_b64 s[2:3], s[0:1], 0x0
	s_getreg_b32 s6, hwreg(HW_REG_IB_STS2, 6, 4)
	s_mov_b32 s19, 0
	s_mov_b32 s23, exec_lo
	s_wait_kmcnt 0x0
	s_ashr_i32 s15, s18, 31
	s_bitcmp1_b32 s14, 0
	s_mov_b32 s14, s18
	s_cselect_b32 s22, -1, 0
	s_bfe_u32 s4, ttmp6, 0x4000c
	s_and_b32 s5, ttmp6, 15
	s_add_co_i32 s4, s4, 1
	s_delay_alu instid0(SALU_CYCLE_1) | instskip(NEXT) | instid1(SALU_CYCLE_1)
	s_mul_i32 s4, ttmp9, s4
	s_add_co_i32 s5, s5, s4
	s_cmp_eq_u32 s6, 0
	s_cselect_b32 s20, ttmp9, s5
	s_delay_alu instid0(SALU_CYCLE_1) | instskip(NEXT) | instid1(SALU_CYCLE_1)
	s_ashr_i32 s21, s20, 31
	s_lshl_b64 s[4:5], s[20:21], 3
	s_delay_alu instid0(SALU_CYCLE_1) | instskip(SKIP_4) | instid1(SALU_CYCLE_1)
	s_add_nc_u64 s[2:3], s[2:3], s[4:5]
	s_load_b64 s[24:25], s[2:3], 0x0
	s_load_b256 s[4:11], s[0:1], 0x28
	s_wait_xcnt 0x0
	s_lshr_b32 s2, s18, 31
	s_add_co_i32 s2, s18, s2
	s_delay_alu instid0(SALU_CYCLE_1) | instskip(NEXT) | instid1(SALU_CYCLE_1)
	s_ashr_i32 s2, s2, 1
	s_ashr_i32 s3, s2, 31
	s_wait_kmcnt 0x0
	s_mul_u64 s[14:15], s[24:25], s[14:15]
	s_mul_i32 s10, s10, s2
	s_lshl_b64 s[14:15], s[14:15], 1
	s_delay_alu instid0(SALU_CYCLE_1) | instskip(SKIP_1) | instid1(SALU_CYCLE_1)
	s_add_nc_u64 s[14:15], s[16:17], s[14:15]
	s_lshl_b64 s[16:17], s[2:3], 1
	s_add_nc_u64 s[16:17], s[14:15], s[16:17]
	v_cmpx_gt_i32_e64 s10, v0
	s_cbranch_execz .LBB11_3
; %bb.1:
	s_abs_i32 s24, s2
	s_clause 0x1
	s_load_b64 s[28:29], s[0:1], 0x8
	s_load_b32 s27, s[0:1], 0x6c
	s_cvt_f32_u32 s18, s24
	s_mul_u64 s[4:5], s[4:5], s[20:21]
	s_sub_co_i32 s33, 0, s24
	s_lshl_b64 s[4:5], s[4:5], 1
	v_rcp_iflag_f32_e32 v1, s18
	v_mov_b32_e32 v4, v0
	s_lshl_b64 s[30:31], s[12:13], 1
	s_lshl_b32 s26, s2, 1
	s_sub_co_i32 s25, 0, s2
	s_sub_co_i32 s26, 0, s26
	v_mov_b32_e32 v3, 0
	v_readfirstlane_b32 s18, v1
	v_lshlrev_b32_e32 v1, 1, v0
	s_mul_f32 s18, s18, 0x4f7ffffe
	s_wait_kmcnt 0x0
	s_add_nc_u64 s[4:5], s[28:29], s[4:5]
	s_and_b32 s27, s27, 0xffff
	s_cvt_u32_f32 s18, s18
	s_add_nc_u64 s[4:5], s[4:5], s[30:31]
	s_lshl_b32 s28, s27, 1
	s_delay_alu instid0(SALU_CYCLE_1) | instskip(NEXT) | instid1(SALU_CYCLE_1)
	s_mul_i32 s33, s33, s18
	s_mul_hi_u32 s29, s18, s33
	s_delay_alu instid0(SALU_CYCLE_1)
	s_add_co_i32 s18, s18, s29
	s_mov_b32 s29, s19
.LBB11_2:                               ; =>This Inner Loop Header: Depth=1
	v_sub_nc_u32_e32 v2, 0, v4
	s_delay_alu instid0(VALU_DEP_1) | instskip(NEXT) | instid1(VALU_DEP_1)
	v_max_i32_e32 v2, v4, v2
	v_mul_u64_e32 v[6:7], s[18:19], v[2:3]
	s_delay_alu instid0(VALU_DEP_1) | instskip(NEXT) | instid1(VALU_DEP_1)
	v_mul_lo_u32 v5, v7, s24
	v_dual_add_nc_u32 v6, 1, v7 :: v_dual_sub_nc_u32 v2, v2, v5
	s_delay_alu instid0(VALU_DEP_1) | instskip(NEXT) | instid1(VALU_DEP_2)
	v_cmp_le_u32_e32 vcc_lo, s24, v2
	v_cndmask_b32_e32 v6, v7, v6, vcc_lo
	v_subrev_nc_u32_e32 v5, s24, v2
	s_delay_alu instid0(VALU_DEP_1) | instskip(NEXT) | instid1(VALU_DEP_3)
	v_dual_cndmask_b32 v2, v2, v5 :: v_dual_ashrrev_i32 v7, 31, v4
	v_add_nc_u32_e32 v5, 1, v6
	s_delay_alu instid0(VALU_DEP_2) | instskip(NEXT) | instid1(VALU_DEP_2)
	v_cmp_le_u32_e32 vcc_lo, s24, v2
	v_dual_cndmask_b32 v2, v6, v5, vcc_lo :: v_dual_bitop2_b32 v7, s3, v7 bitop3:0x14
	s_delay_alu instid0(VALU_DEP_1) | instskip(NEXT) | instid1(VALU_DEP_1)
	v_xor_b32_e32 v2, v2, v7
	v_sub_nc_u32_e32 v6, v2, v7
	s_delay_alu instid0(VALU_DEP_1) | instskip(NEXT) | instid1(VALU_DEP_1)
	v_mad_u32 v10, s26, v6, v1
	v_dual_add_nc_u32 v1, s28, v1 :: v_dual_ashrrev_i32 v11, 31, v10
	v_ashrrev_i32_e32 v7, 31, v6
	v_mad_u32 v2, s25, v6, v4
	v_add_nc_u32_e32 v4, s27, v4
	s_delay_alu instid0(VALU_DEP_3) | instskip(NEXT) | instid1(VALU_DEP_2)
	v_mul_u64_e32 v[8:9], s[8:9], v[6:7]
	v_cmp_le_i32_e32 vcc_lo, s10, v4
	s_or_b32 s29, vcc_lo, s29
	s_delay_alu instid0(VALU_DEP_2) | instskip(NEXT) | instid1(VALU_DEP_1)
	v_lshl_add_u64 v[8:9], v[8:9], 1, s[4:5]
	v_lshl_add_u64 v[6:7], v[10:11], 1, v[8:9]
	global_load_b32 v5, v[6:7], off
	s_clause 0x1
	global_load_u16 v8, v2, s[16:17] scale_offset
	global_load_u16 v12, v2, s[14:15] scale_offset
	s_wait_loadcnt 0x1
	s_wait_xcnt 0x0
	v_dual_lshrrev_b32 v2, 16, v5 :: v_dual_lshlrev_b32 v10, 16, v8
	v_cvt_f32_f16_e32 v8, v5
	s_wait_loadcnt 0x0
	v_lshlrev_b32_e32 v12, 16, v12
	s_delay_alu instid0(VALU_DEP_3) | instskip(NEXT) | instid1(VALU_DEP_3)
	v_cvt_f32_f16_e32 v9, v2
	v_dual_cndmask_b32 v2, v10, -v10, s22 :: v_dual_mov_b32 v11, v8
	s_delay_alu instid0(VALU_DEP_2) | instskip(NEXT) | instid1(VALU_DEP_1)
	v_mov_b32_e32 v10, v9
	v_pk_mul_f32 v[10:11], v[2:3], v[10:11] op_sel_hi:[0,1]
	s_delay_alu instid0(VALU_DEP_1) | instskip(SKIP_1) | instid1(VALU_DEP_1)
	v_pk_fma_f32 v[14:15], v[12:13], v[8:9], v[10:11] neg_lo:[0,0,1] neg_hi:[0,0,1]
	v_pk_fma_f32 v[8:9], v[12:13], v[8:9], v[10:11] op_sel_hi:[0,1,1]
	v_cvt_pk_f16_f32 v2, v14, v9
	global_store_b32 v[6:7], v2, off
	s_wait_xcnt 0x0
	s_and_not1_b32 exec_lo, exec_lo, s29
	s_cbranch_execnz .LBB11_2
.LBB11_3:
	s_or_b32 exec_lo, exec_lo, s23
	s_load_b64 s[4:5], s[0:1], 0x10
	s_wait_kmcnt 0x0
	s_cmp_lg_u64 s[4:5], 0
	s_cbranch_scc0 .LBB11_7
; %bb.4:
	s_mul_i32 s10, s11, s2
	s_mov_b32 s11, exec_lo
	v_cmpx_gt_i32_e64 s10, v0
	s_cbranch_execz .LBB11_7
; %bb.5:
	s_abs_i32 s11, s2
	s_load_b32 s0, s[0:1], 0x6c
	s_cvt_f32_u32 s18, s11
	s_lshl_b64 s[12:13], s[12:13], 1
	s_wait_xcnt 0x0
	s_mov_b32 s1, 0
	v_mov_b32_e32 v3, 0
	v_rcp_iflag_f32_e32 v1, s18
	s_mul_u64 s[18:19], s[6:7], s[20:21]
	s_sub_co_i32 s20, 0, s11
	s_lshl_b64 s[18:19], s[18:19], 1
	s_sub_co_i32 s6, 0, s2
	s_lshl_b32 s2, s2, 1
	s_add_nc_u64 s[4:5], s[4:5], s[18:19]
	v_nop
	v_readfirstlane_b32 s7, v1
	v_lshlrev_b32_e32 v1, 1, v0
	s_sub_co_i32 s2, 0, s2
	s_add_nc_u64 s[4:5], s[4:5], s[12:13]
	s_mov_b32 s13, s1
	s_mul_f32 s7, s7, 0x4f7ffffe
	s_delay_alu instid0(SALU_CYCLE_3) | instskip(SKIP_2) | instid1(SALU_CYCLE_1)
	s_cvt_u32_f32 s21, s7
	s_wait_kmcnt 0x0
	s_and_b32 s7, s0, 0xffff
	s_lshl_b32 s12, s7, 1
	s_mul_i32 s20, s20, s21
	s_delay_alu instid0(SALU_CYCLE_1) | instskip(NEXT) | instid1(SALU_CYCLE_1)
	s_mul_hi_u32 s0, s21, s20
	s_add_co_i32 s0, s21, s0
.LBB11_6:                               ; =>This Inner Loop Header: Depth=1
	v_sub_nc_u32_e32 v2, 0, v0
	s_delay_alu instid0(VALU_DEP_1) | instskip(NEXT) | instid1(VALU_DEP_1)
	v_max_i32_e32 v2, v0, v2
	v_mul_u64_e32 v[4:5], s[0:1], v[2:3]
	s_delay_alu instid0(VALU_DEP_1) | instskip(NEXT) | instid1(VALU_DEP_1)
	v_mul_lo_u32 v4, v5, s11
	v_dual_add_nc_u32 v6, 1, v5 :: v_dual_sub_nc_u32 v2, v2, v4
	s_delay_alu instid0(VALU_DEP_1) | instskip(NEXT) | instid1(VALU_DEP_2)
	v_cmp_le_u32_e32 vcc_lo, s11, v2
	v_cndmask_b32_e32 v5, v5, v6, vcc_lo
	v_subrev_nc_u32_e32 v4, s11, v2
	v_ashrrev_i32_e32 v6, 31, v0
	s_delay_alu instid0(VALU_DEP_2) | instskip(NEXT) | instid1(VALU_DEP_1)
	v_dual_cndmask_b32 v2, v2, v4, vcc_lo :: v_dual_add_nc_u32 v4, 1, v5
	v_cmp_le_u32_e32 vcc_lo, s11, v2
	s_delay_alu instid0(VALU_DEP_2) | instskip(NEXT) | instid1(VALU_DEP_1)
	v_dual_cndmask_b32 v2, v5, v4, vcc_lo :: v_dual_bitop2_b32 v6, s3, v6 bitop3:0x14
	v_xor_b32_e32 v2, v2, v6
	s_delay_alu instid0(VALU_DEP_1) | instskip(NEXT) | instid1(VALU_DEP_1)
	v_sub_nc_u32_e32 v4, v2, v6
	v_mad_u32 v8, s2, v4, v1
	s_delay_alu instid0(VALU_DEP_1) | instskip(SKIP_3) | instid1(VALU_DEP_3)
	v_dual_add_nc_u32 v1, s12, v1 :: v_dual_ashrrev_i32 v9, 31, v8
	v_ashrrev_i32_e32 v5, 31, v4
	v_mad_u32 v2, s6, v4, v0
	v_add_nc_u32_e32 v0, s7, v0
	v_mul_u64_e32 v[6:7], s[8:9], v[4:5]
	s_delay_alu instid0(VALU_DEP_2) | instskip(SKIP_1) | instid1(VALU_DEP_2)
	v_cmp_le_i32_e32 vcc_lo, s10, v0
	s_or_b32 s13, vcc_lo, s13
	v_lshl_add_u64 v[6:7], v[6:7], 1, s[4:5]
	s_delay_alu instid0(VALU_DEP_1)
	v_lshl_add_u64 v[4:5], v[8:9], 1, v[6:7]
	global_load_b32 v6, v[4:5], off
	s_clause 0x1
	global_load_u16 v7, v2, s[16:17] scale_offset
	global_load_u16 v10, v2, s[14:15] scale_offset
	s_wait_loadcnt 0x1
	s_wait_xcnt 0x0
	v_dual_lshrrev_b32 v2, 16, v6 :: v_dual_lshlrev_b32 v8, 16, v7
	v_cvt_f32_f16_e32 v6, v6
	s_wait_loadcnt 0x0
	v_lshlrev_b32_e32 v10, 16, v10
	s_delay_alu instid0(VALU_DEP_3) | instskip(NEXT) | instid1(VALU_DEP_3)
	v_cvt_f32_f16_e32 v7, v2
	v_dual_cndmask_b32 v2, v8, -v8, s22 :: v_dual_mov_b32 v9, v6
	s_delay_alu instid0(VALU_DEP_2) | instskip(NEXT) | instid1(VALU_DEP_1)
	v_mov_b32_e32 v8, v7
	v_pk_mul_f32 v[8:9], v[2:3], v[8:9] op_sel_hi:[0,1]
	s_delay_alu instid0(VALU_DEP_1) | instskip(SKIP_1) | instid1(VALU_DEP_1)
	v_pk_fma_f32 v[12:13], v[10:11], v[6:7], v[8:9] neg_lo:[0,0,1] neg_hi:[0,0,1]
	v_pk_fma_f32 v[6:7], v[10:11], v[6:7], v[8:9] op_sel_hi:[0,1,1]
	v_cvt_pk_f16_f32 v2, v12, v7
	global_store_b32 v[4:5], v2, off
	s_wait_xcnt 0x0
	s_and_not1_b32 exec_lo, exec_lo, s13
	s_cbranch_execnz .LBB11_6
.LBB11_7:
	s_endpgm
	.section	.rodata,"a",@progbits
	.p2align	6, 0x0
	.amdhsa_kernel _ZN4vllm23rotary_embedding_kernelIN3c104HalfENS1_8BFloat16ELb0EEEvPKlPT_S7_PKT0_illliiilb
		.amdhsa_group_segment_fixed_size 0
		.amdhsa_private_segment_fixed_size 0
		.amdhsa_kernarg_size 352
		.amdhsa_user_sgpr_count 2
		.amdhsa_user_sgpr_dispatch_ptr 0
		.amdhsa_user_sgpr_queue_ptr 0
		.amdhsa_user_sgpr_kernarg_segment_ptr 1
		.amdhsa_user_sgpr_dispatch_id 0
		.amdhsa_user_sgpr_kernarg_preload_length 0
		.amdhsa_user_sgpr_kernarg_preload_offset 0
		.amdhsa_user_sgpr_private_segment_size 0
		.amdhsa_wavefront_size32 1
		.amdhsa_uses_dynamic_stack 0
		.amdhsa_enable_private_segment 0
		.amdhsa_system_sgpr_workgroup_id_x 1
		.amdhsa_system_sgpr_workgroup_id_y 0
		.amdhsa_system_sgpr_workgroup_id_z 0
		.amdhsa_system_sgpr_workgroup_info 0
		.amdhsa_system_vgpr_workitem_id 0
		.amdhsa_next_free_vgpr 16
		.amdhsa_next_free_sgpr 34
		.amdhsa_named_barrier_count 0
		.amdhsa_reserve_vcc 1
		.amdhsa_float_round_mode_32 0
		.amdhsa_float_round_mode_16_64 0
		.amdhsa_float_denorm_mode_32 3
		.amdhsa_float_denorm_mode_16_64 3
		.amdhsa_fp16_overflow 0
		.amdhsa_memory_ordered 1
		.amdhsa_forward_progress 1
		.amdhsa_inst_pref_size 10
		.amdhsa_round_robin_scheduling 0
		.amdhsa_exception_fp_ieee_invalid_op 0
		.amdhsa_exception_fp_denorm_src 0
		.amdhsa_exception_fp_ieee_div_zero 0
		.amdhsa_exception_fp_ieee_overflow 0
		.amdhsa_exception_fp_ieee_underflow 0
		.amdhsa_exception_fp_ieee_inexact 0
		.amdhsa_exception_int_div_zero 0
	.end_amdhsa_kernel
	.section	.text._ZN4vllm23rotary_embedding_kernelIN3c104HalfENS1_8BFloat16ELb0EEEvPKlPT_S7_PKT0_illliiilb,"axG",@progbits,_ZN4vllm23rotary_embedding_kernelIN3c104HalfENS1_8BFloat16ELb0EEEvPKlPT_S7_PKT0_illliiilb,comdat
.Lfunc_end11:
	.size	_ZN4vllm23rotary_embedding_kernelIN3c104HalfENS1_8BFloat16ELb0EEEvPKlPT_S7_PKT0_illliiilb, .Lfunc_end11-_ZN4vllm23rotary_embedding_kernelIN3c104HalfENS1_8BFloat16ELb0EEEvPKlPT_S7_PKT0_illliiilb
                                        ; -- End function
	.set _ZN4vllm23rotary_embedding_kernelIN3c104HalfENS1_8BFloat16ELb0EEEvPKlPT_S7_PKT0_illliiilb.num_vgpr, 16
	.set _ZN4vllm23rotary_embedding_kernelIN3c104HalfENS1_8BFloat16ELb0EEEvPKlPT_S7_PKT0_illliiilb.num_agpr, 0
	.set _ZN4vllm23rotary_embedding_kernelIN3c104HalfENS1_8BFloat16ELb0EEEvPKlPT_S7_PKT0_illliiilb.numbered_sgpr, 34
	.set _ZN4vllm23rotary_embedding_kernelIN3c104HalfENS1_8BFloat16ELb0EEEvPKlPT_S7_PKT0_illliiilb.num_named_barrier, 0
	.set _ZN4vllm23rotary_embedding_kernelIN3c104HalfENS1_8BFloat16ELb0EEEvPKlPT_S7_PKT0_illliiilb.private_seg_size, 0
	.set _ZN4vllm23rotary_embedding_kernelIN3c104HalfENS1_8BFloat16ELb0EEEvPKlPT_S7_PKT0_illliiilb.uses_vcc, 1
	.set _ZN4vllm23rotary_embedding_kernelIN3c104HalfENS1_8BFloat16ELb0EEEvPKlPT_S7_PKT0_illliiilb.uses_flat_scratch, 0
	.set _ZN4vllm23rotary_embedding_kernelIN3c104HalfENS1_8BFloat16ELb0EEEvPKlPT_S7_PKT0_illliiilb.has_dyn_sized_stack, 0
	.set _ZN4vllm23rotary_embedding_kernelIN3c104HalfENS1_8BFloat16ELb0EEEvPKlPT_S7_PKT0_illliiilb.has_recursion, 0
	.set _ZN4vllm23rotary_embedding_kernelIN3c104HalfENS1_8BFloat16ELb0EEEvPKlPT_S7_PKT0_illliiilb.has_indirect_call, 0
	.section	.AMDGPU.csdata,"",@progbits
; Kernel info:
; codeLenInByte = 1200
; TotalNumSgprs: 36
; NumVgprs: 16
; ScratchSize: 0
; MemoryBound: 0
; FloatMode: 240
; IeeeMode: 1
; LDSByteSize: 0 bytes/workgroup (compile time only)
; SGPRBlocks: 0
; VGPRBlocks: 0
; NumSGPRsForWavesPerEU: 36
; NumVGPRsForWavesPerEU: 16
; NamedBarCnt: 0
; Occupancy: 16
; WaveLimiterHint : 1
; COMPUTE_PGM_RSRC2:SCRATCH_EN: 0
; COMPUTE_PGM_RSRC2:USER_SGPR: 2
; COMPUTE_PGM_RSRC2:TRAP_HANDLER: 0
; COMPUTE_PGM_RSRC2:TGID_X_EN: 1
; COMPUTE_PGM_RSRC2:TGID_Y_EN: 0
; COMPUTE_PGM_RSRC2:TGID_Z_EN: 0
; COMPUTE_PGM_RSRC2:TIDIG_COMP_CNT: 0
	.section	.text._ZN4vllm23rotary_embedding_kernelIN3c108BFloat16EfLb1EEEvPKlPT_S6_PKT0_illliiilb,"axG",@progbits,_ZN4vllm23rotary_embedding_kernelIN3c108BFloat16EfLb1EEEvPKlPT_S6_PKT0_illliiilb,comdat
	.protected	_ZN4vllm23rotary_embedding_kernelIN3c108BFloat16EfLb1EEEvPKlPT_S6_PKT0_illliiilb ; -- Begin function _ZN4vllm23rotary_embedding_kernelIN3c108BFloat16EfLb1EEEvPKlPT_S6_PKT0_illliiilb
	.globl	_ZN4vllm23rotary_embedding_kernelIN3c108BFloat16EfLb1EEEvPKlPT_S6_PKT0_illliiilb
	.p2align	8
	.type	_ZN4vllm23rotary_embedding_kernelIN3c108BFloat16EfLb1EEEvPKlPT_S6_PKT0_illliiilb,@function
_ZN4vllm23rotary_embedding_kernelIN3c108BFloat16EfLb1EEEvPKlPT_S6_PKT0_illliiilb: ; @_ZN4vllm23rotary_embedding_kernelIN3c108BFloat16EfLb1EEEvPKlPT_S6_PKT0_illliiilb
; %bb.0:
	s_clause 0x2
	s_load_b96 s[16:18], s[0:1], 0x18
	s_load_b96 s[12:14], s[0:1], 0x50
	s_load_b64 s[2:3], s[0:1], 0x0
	s_getreg_b32 s6, hwreg(HW_REG_IB_STS2, 6, 4)
	s_mov_b32 s25, exec_lo
	s_wait_kmcnt 0x0
	s_ashr_i32 s19, s18, 31
	s_bitcmp1_b32 s14, 0
	s_cselect_b32 s24, -1, 0
	s_bfe_u32 s4, ttmp6, 0x4000c
	s_and_b32 s5, ttmp6, 15
	s_add_co_i32 s4, s4, 1
	s_delay_alu instid0(SALU_CYCLE_1) | instskip(NEXT) | instid1(SALU_CYCLE_1)
	s_mul_i32 s4, ttmp9, s4
	s_add_co_i32 s5, s5, s4
	s_cmp_eq_u32 s6, 0
	s_cselect_b32 s20, ttmp9, s5
	s_delay_alu instid0(SALU_CYCLE_1) | instskip(NEXT) | instid1(SALU_CYCLE_1)
	s_ashr_i32 s21, s20, 31
	s_lshl_b64 s[4:5], s[20:21], 3
	s_delay_alu instid0(SALU_CYCLE_1) | instskip(SKIP_4) | instid1(SALU_CYCLE_1)
	s_add_nc_u64 s[2:3], s[2:3], s[4:5]
	s_load_b64 s[22:23], s[2:3], 0x0
	s_load_b256 s[4:11], s[0:1], 0x28
	s_wait_xcnt 0x0
	s_lshr_b32 s2, s18, 31
	s_add_co_i32 s2, s18, s2
	s_delay_alu instid0(SALU_CYCLE_1) | instskip(NEXT) | instid1(SALU_CYCLE_1)
	s_ashr_i32 s14, s2, 1
	s_ashr_i32 s15, s14, 31
	s_wait_kmcnt 0x0
	s_mul_u64 s[2:3], s[22:23], s[18:19]
	s_mul_i32 s10, s10, s14
	s_lshl_b64 s[2:3], s[2:3], 2
	s_mov_b32 s23, 0
	s_add_nc_u64 s[16:17], s[16:17], s[2:3]
	s_lshl_b64 s[2:3], s[14:15], 2
	s_delay_alu instid0(SALU_CYCLE_1)
	s_add_nc_u64 s[18:19], s[16:17], s[2:3]
	v_cmpx_gt_i32_e64 s10, v0
	s_cbranch_execz .LBB12_3
; %bb.1:
	s_abs_i32 s26, s14
	s_load_b64 s[2:3], s[0:1], 0x8
	s_cvt_f32_u32 s22, s26
	s_mul_u64 s[4:5], s[4:5], s[20:21]
	v_mov_b32_e32 v3, 0
	s_lshl_b64 s[4:5], s[4:5], 1
	v_rcp_iflag_f32_e32 v1, s22
	s_load_b32 s22, s[0:1], 0x6c
	s_lshl_b64 s[30:31], s[12:13], 1
	s_ashr_i32 s27, s14, 31
	v_nop
	s_delay_alu instid0(TRANS32_DEP_1)
	v_readfirstlane_b32 s28, v1
	v_mov_b32_e32 v1, v0
	s_mul_f32 s29, s28, 0x4f7ffffe
	s_sub_co_i32 s28, 0, s14
	s_wait_kmcnt 0x0
	s_add_nc_u64 s[2:3], s[2:3], s[4:5]
	s_cvt_u32_f32 s33, s29
	s_sub_co_i32 s29, 0, s26
	s_delay_alu instid0(SALU_CYCLE_2)
	s_mul_i32 s4, s29, s33
	s_and_b32 s29, s22, 0xffff
	s_mul_hi_u32 s22, s33, s4
	s_add_nc_u64 s[4:5], s[2:3], s[30:31]
	s_add_co_i32 s22, s33, s22
	s_mov_b32 s30, s23
.LBB12_2:                               ; =>This Inner Loop Header: Depth=1
	v_sub_nc_u32_e32 v2, 0, v1
	s_delay_alu instid0(VALU_DEP_1) | instskip(NEXT) | instid1(VALU_DEP_1)
	v_max_i32_e32 v2, v1, v2
	v_mul_u64_e32 v[4:5], s[22:23], v[2:3]
	s_delay_alu instid0(VALU_DEP_1) | instskip(NEXT) | instid1(VALU_DEP_1)
	v_mul_lo_u32 v4, v5, s26
	v_dual_add_nc_u32 v6, 1, v5 :: v_dual_sub_nc_u32 v2, v2, v4
	s_delay_alu instid0(VALU_DEP_1) | instskip(NEXT) | instid1(VALU_DEP_2)
	v_cmp_le_u32_e32 vcc_lo, s26, v2
	v_dual_cndmask_b32 v5, v5, v6 :: v_dual_ashrrev_i32 v6, 31, v1
	v_subrev_nc_u32_e32 v4, s26, v2
	s_delay_alu instid0(VALU_DEP_1) | instskip(NEXT) | instid1(VALU_DEP_1)
	v_dual_cndmask_b32 v2, v2, v4, vcc_lo :: v_dual_add_nc_u32 v4, 1, v5
	v_cmp_le_u32_e32 vcc_lo, s26, v2
	s_delay_alu instid0(VALU_DEP_2) | instskip(NEXT) | instid1(VALU_DEP_1)
	v_dual_cndmask_b32 v2, v5, v4, vcc_lo :: v_dual_bitop2_b32 v6, s27, v6 bitop3:0x14
	v_xor_b32_e32 v2, v2, v6
	s_delay_alu instid0(VALU_DEP_1) | instskip(NEXT) | instid1(VALU_DEP_1)
	v_sub_nc_u32_e32 v4, v2, v6
	v_ashrrev_i32_e32 v5, 31, v4
	s_delay_alu instid0(VALU_DEP_1)
	v_mul_u64_e32 v[6:7], s[8:9], v[4:5]
	v_mad_u32 v4, s28, v4, v1
	s_clause 0x1
	global_load_b32 v2, v4, s[18:19] scale_offset
	global_load_b32 v8, v4, s[16:17] scale_offset
	v_ashrrev_i32_e32 v5, 31, v4
	v_lshl_add_u64 v[6:7], v[6:7], 1, s[4:5]
	s_wait_loadcnt 0x1
	v_cndmask_b32_e64 v9, v2, -v2, s24
	s_delay_alu instid0(VALU_DEP_2) | instskip(SKIP_3) | instid1(VALU_DEP_2)
	v_lshl_add_u64 v[6:7], v[4:5], 1, v[6:7]
	s_wait_loadcnt 0x0
	v_mov_b32_e32 v11, v8
	s_wait_xcnt 0x0
	v_lshl_add_u64 v[4:5], s[14:15], 1, v[6:7]
	s_clause 0x1
	global_load_u16 v12, v[6:7], off
	global_load_u16 v13, v[4:5], off
	s_wait_loadcnt 0x1
	v_dual_mov_b32 v10, v9 :: v_dual_lshlrev_b32 v12, 16, v12
	s_wait_loadcnt 0x0
	v_lshlrev_b32_e32 v13, 16, v13
	s_delay_alu instid0(VALU_DEP_1) | instskip(NEXT) | instid1(VALU_DEP_3)
	v_pk_mul_f32 v[8:9], v[8:9], v[12:13]
	v_pk_mul_f32 v[10:11], v[10:11], v[12:13]
	s_delay_alu instid0(VALU_DEP_1) | instskip(NEXT) | instid1(VALU_DEP_1)
	v_dual_sub_f32 v2, v8, v9 :: v_dual_add_f32 v8, v10, v11
	v_bfe_u32 v9, v2, 16, 1
	s_delay_alu instid0(VALU_DEP_2) | instskip(SKIP_1) | instid1(VALU_DEP_3)
	v_bfe_u32 v10, v8, 16, 1
	v_cmp_o_f32_e64 s2, v8, v8
	v_add3_u32 v9, v2, v9, 0x7fff
	s_delay_alu instid0(VALU_DEP_3) | instskip(SKIP_1) | instid1(VALU_DEP_3)
	v_add3_u32 v10, v8, v10, 0x7fff
	v_add_nc_u32_e32 v1, s29, v1
	v_lshrrev_b32_e32 v9, 16, v9
	v_cmp_o_f32_e64 s3, v2, v2
	s_delay_alu instid0(VALU_DEP_4) | instskip(NEXT) | instid1(VALU_DEP_4)
	v_lshrrev_b32_e32 v10, 16, v10
	v_cmp_le_i32_e32 vcc_lo, s10, v1
	s_delay_alu instid0(VALU_DEP_3) | instskip(NEXT) | instid1(VALU_DEP_3)
	v_cndmask_b32_e64 v2, 0x7fc0, v9, s3
	v_cndmask_b32_e64 v8, 0x7fc0, v10, s2
	s_or_b32 s30, vcc_lo, s30
	s_clause 0x1
	global_store_b16 v[6:7], v2, off
	global_store_b16 v[4:5], v8, off
	s_wait_xcnt 0x0
	s_and_not1_b32 exec_lo, exec_lo, s30
	s_cbranch_execnz .LBB12_2
.LBB12_3:
	s_or_b32 exec_lo, exec_lo, s25
	s_load_b64 s[4:5], s[0:1], 0x10
	s_wait_kmcnt 0x0
	s_cmp_lg_u64 s[4:5], 0
	s_cbranch_scc0 .LBB12_7
; %bb.4:
	s_mul_i32 s10, s11, s14
	s_mov_b32 s2, exec_lo
	v_cmpx_gt_i32_e64 s10, v0
	s_cbranch_execz .LBB12_7
; %bb.5:
	s_abs_i32 s11, s14
	s_lshl_b64 s[12:13], s[12:13], 1
	s_cvt_f32_u32 s2, s11
	v_mov_b32_e32 v3, 0
	s_delay_alu instid0(SALU_CYCLE_2)
	v_rcp_iflag_f32_e32 v1, s2
	s_load_b32 s2, s[0:1], 0x6c
	s_wait_xcnt 0x0
	s_mul_u64 s[0:1], s[6:7], s[20:21]
	s_sub_co_i32 s21, 0, s11
	s_lshl_b64 s[0:1], s[0:1], 1
	s_ashr_i32 s6, s14, 31
	s_add_nc_u64 s[0:1], s[4:5], s[0:1]
	v_nop
	v_readfirstlane_b32 s3, v1
	s_add_nc_u64 s[4:5], s[0:1], s[12:13]
	s_sub_co_i32 s7, 0, s14
	s_mul_f32 s20, s3, 0x4f7ffffe
	s_mov_b32 s3, 0
	s_delay_alu instid0(SALU_CYCLE_1) | instskip(NEXT) | instid1(SALU_CYCLE_1)
	s_mov_b32 s13, s3
	s_cvt_u32_f32 s20, s20
	s_delay_alu instid0(SALU_CYCLE_3) | instskip(SKIP_3) | instid1(SALU_CYCLE_1)
	s_mul_i32 s21, s21, s20
	s_wait_kmcnt 0x0
	s_and_b32 s12, s2, 0xffff
	s_mul_hi_u32 s0, s20, s21
	s_add_co_i32 s2, s20, s0
.LBB12_6:                               ; =>This Inner Loop Header: Depth=1
	v_sub_nc_u32_e32 v1, 0, v0
	s_delay_alu instid0(VALU_DEP_1) | instskip(NEXT) | instid1(VALU_DEP_1)
	v_max_i32_e32 v2, v0, v1
	v_mul_u64_e32 v[4:5], s[2:3], v[2:3]
	s_delay_alu instid0(VALU_DEP_1) | instskip(SKIP_1) | instid1(VALU_DEP_2)
	v_mul_lo_u32 v1, v5, s11
	v_add_nc_u32_e32 v4, 1, v5
	v_sub_nc_u32_e32 v1, v2, v1
	s_delay_alu instid0(VALU_DEP_1) | instskip(NEXT) | instid1(VALU_DEP_3)
	v_cmp_le_u32_e32 vcc_lo, s11, v1
	v_cndmask_b32_e32 v4, v5, v4, vcc_lo
	v_ashrrev_i32_e32 v5, 31, v0
	v_subrev_nc_u32_e32 v2, s11, v1
	s_delay_alu instid0(VALU_DEP_1) | instskip(NEXT) | instid1(VALU_DEP_1)
	v_dual_cndmask_b32 v1, v1, v2 :: v_dual_add_nc_u32 v2, 1, v4
	v_cmp_le_u32_e32 vcc_lo, s11, v1
	s_delay_alu instid0(VALU_DEP_2) | instskip(NEXT) | instid1(VALU_DEP_1)
	v_dual_cndmask_b32 v1, v4, v2, vcc_lo :: v_dual_bitop2_b32 v5, s6, v5 bitop3:0x14
	v_xor_b32_e32 v1, v1, v5
	s_delay_alu instid0(VALU_DEP_1) | instskip(NEXT) | instid1(VALU_DEP_1)
	v_sub_nc_u32_e32 v4, v1, v5
	v_ashrrev_i32_e32 v5, 31, v4
	s_delay_alu instid0(VALU_DEP_1)
	v_mul_u64_e32 v[6:7], s[8:9], v[4:5]
	v_mad_u32 v4, s7, v4, v0
	s_clause 0x1
	global_load_b32 v1, v4, s[18:19] scale_offset
	global_load_b32 v8, v4, s[16:17] scale_offset
	v_ashrrev_i32_e32 v5, 31, v4
	v_add_nc_u32_e32 v0, s12, v0
	s_delay_alu instid0(VALU_DEP_1) | instskip(SKIP_4) | instid1(VALU_DEP_2)
	v_cmp_le_i32_e32 vcc_lo, s10, v0
	s_or_b32 s13, vcc_lo, s13
	v_lshl_add_u64 v[6:7], v[6:7], 1, s[4:5]
	s_wait_loadcnt 0x1
	v_cndmask_b32_e64 v9, v1, -v1, s24
	v_lshl_add_u64 v[6:7], v[4:5], 1, v[6:7]
	s_wait_loadcnt 0x0
	v_mov_b32_e32 v11, v8
	s_wait_xcnt 0x0
	s_delay_alu instid0(VALU_DEP_2)
	v_lshl_add_u64 v[4:5], s[14:15], 1, v[6:7]
	s_clause 0x1
	global_load_u16 v2, v[6:7], off
	global_load_u16 v13, v[4:5], off
	s_wait_loadcnt 0x1
	v_dual_mov_b32 v10, v9 :: v_dual_lshlrev_b32 v12, 16, v2
	s_wait_loadcnt 0x0
	v_lshlrev_b32_e32 v13, 16, v13
	s_delay_alu instid0(VALU_DEP_1) | instskip(NEXT) | instid1(VALU_DEP_1)
	v_pk_mul_f32 v[10:11], v[10:11], v[12:13]
	v_add_f32_e32 v2, v10, v11
	v_pk_mul_f32 v[8:9], v[8:9], v[12:13]
	s_delay_alu instid0(VALU_DEP_2) | instskip(NEXT) | instid1(VALU_DEP_2)
	v_cmp_o_f32_e64 s0, v2, v2
	v_sub_f32_e32 v1, v8, v9
	v_bfe_u32 v9, v2, 16, 1
	s_delay_alu instid0(VALU_DEP_2) | instskip(NEXT) | instid1(VALU_DEP_2)
	v_bfe_u32 v8, v1, 16, 1
	v_add3_u32 v9, v2, v9, 0x7fff
	v_cmp_o_f32_e64 s1, v1, v1
	s_delay_alu instid0(VALU_DEP_3) | instskip(NEXT) | instid1(VALU_DEP_1)
	v_add3_u32 v8, v1, v8, 0x7fff
	v_dual_lshrrev_b32 v9, 16, v9 :: v_dual_lshrrev_b32 v8, 16, v8
	s_delay_alu instid0(VALU_DEP_1) | instskip(NEXT) | instid1(VALU_DEP_2)
	v_cndmask_b32_e64 v2, 0x7fc0, v9, s0
	v_cndmask_b32_e64 v1, 0x7fc0, v8, s1
	s_clause 0x1
	global_store_b16 v[6:7], v1, off
	global_store_b16 v[4:5], v2, off
	s_wait_xcnt 0x0
	s_and_not1_b32 exec_lo, exec_lo, s13
	s_cbranch_execnz .LBB12_6
.LBB12_7:
	s_endpgm
	.section	.rodata,"a",@progbits
	.p2align	6, 0x0
	.amdhsa_kernel _ZN4vllm23rotary_embedding_kernelIN3c108BFloat16EfLb1EEEvPKlPT_S6_PKT0_illliiilb
		.amdhsa_group_segment_fixed_size 0
		.amdhsa_private_segment_fixed_size 0
		.amdhsa_kernarg_size 352
		.amdhsa_user_sgpr_count 2
		.amdhsa_user_sgpr_dispatch_ptr 0
		.amdhsa_user_sgpr_queue_ptr 0
		.amdhsa_user_sgpr_kernarg_segment_ptr 1
		.amdhsa_user_sgpr_dispatch_id 0
		.amdhsa_user_sgpr_kernarg_preload_length 0
		.amdhsa_user_sgpr_kernarg_preload_offset 0
		.amdhsa_user_sgpr_private_segment_size 0
		.amdhsa_wavefront_size32 1
		.amdhsa_uses_dynamic_stack 0
		.amdhsa_enable_private_segment 0
		.amdhsa_system_sgpr_workgroup_id_x 1
		.amdhsa_system_sgpr_workgroup_id_y 0
		.amdhsa_system_sgpr_workgroup_id_z 0
		.amdhsa_system_sgpr_workgroup_info 0
		.amdhsa_system_vgpr_workitem_id 0
		.amdhsa_next_free_vgpr 14
		.amdhsa_next_free_sgpr 34
		.amdhsa_named_barrier_count 0
		.amdhsa_reserve_vcc 1
		.amdhsa_float_round_mode_32 0
		.amdhsa_float_round_mode_16_64 0
		.amdhsa_float_denorm_mode_32 3
		.amdhsa_float_denorm_mode_16_64 3
		.amdhsa_fp16_overflow 0
		.amdhsa_memory_ordered 1
		.amdhsa_forward_progress 1
		.amdhsa_inst_pref_size 11
		.amdhsa_round_robin_scheduling 0
		.amdhsa_exception_fp_ieee_invalid_op 0
		.amdhsa_exception_fp_denorm_src 0
		.amdhsa_exception_fp_ieee_div_zero 0
		.amdhsa_exception_fp_ieee_overflow 0
		.amdhsa_exception_fp_ieee_underflow 0
		.amdhsa_exception_fp_ieee_inexact 0
		.amdhsa_exception_int_div_zero 0
	.end_amdhsa_kernel
	.section	.text._ZN4vllm23rotary_embedding_kernelIN3c108BFloat16EfLb1EEEvPKlPT_S6_PKT0_illliiilb,"axG",@progbits,_ZN4vllm23rotary_embedding_kernelIN3c108BFloat16EfLb1EEEvPKlPT_S6_PKT0_illliiilb,comdat
.Lfunc_end12:
	.size	_ZN4vllm23rotary_embedding_kernelIN3c108BFloat16EfLb1EEEvPKlPT_S6_PKT0_illliiilb, .Lfunc_end12-_ZN4vllm23rotary_embedding_kernelIN3c108BFloat16EfLb1EEEvPKlPT_S6_PKT0_illliiilb
                                        ; -- End function
	.set _ZN4vllm23rotary_embedding_kernelIN3c108BFloat16EfLb1EEEvPKlPT_S6_PKT0_illliiilb.num_vgpr, 14
	.set _ZN4vllm23rotary_embedding_kernelIN3c108BFloat16EfLb1EEEvPKlPT_S6_PKT0_illliiilb.num_agpr, 0
	.set _ZN4vllm23rotary_embedding_kernelIN3c108BFloat16EfLb1EEEvPKlPT_S6_PKT0_illliiilb.numbered_sgpr, 34
	.set _ZN4vllm23rotary_embedding_kernelIN3c108BFloat16EfLb1EEEvPKlPT_S6_PKT0_illliiilb.num_named_barrier, 0
	.set _ZN4vllm23rotary_embedding_kernelIN3c108BFloat16EfLb1EEEvPKlPT_S6_PKT0_illliiilb.private_seg_size, 0
	.set _ZN4vllm23rotary_embedding_kernelIN3c108BFloat16EfLb1EEEvPKlPT_S6_PKT0_illliiilb.uses_vcc, 1
	.set _ZN4vllm23rotary_embedding_kernelIN3c108BFloat16EfLb1EEEvPKlPT_S6_PKT0_illliiilb.uses_flat_scratch, 0
	.set _ZN4vllm23rotary_embedding_kernelIN3c108BFloat16EfLb1EEEvPKlPT_S6_PKT0_illliiilb.has_dyn_sized_stack, 0
	.set _ZN4vllm23rotary_embedding_kernelIN3c108BFloat16EfLb1EEEvPKlPT_S6_PKT0_illliiilb.has_recursion, 0
	.set _ZN4vllm23rotary_embedding_kernelIN3c108BFloat16EfLb1EEEvPKlPT_S6_PKT0_illliiilb.has_indirect_call, 0
	.section	.AMDGPU.csdata,"",@progbits
; Kernel info:
; codeLenInByte = 1396
; TotalNumSgprs: 36
; NumVgprs: 14
; ScratchSize: 0
; MemoryBound: 0
; FloatMode: 240
; IeeeMode: 1
; LDSByteSize: 0 bytes/workgroup (compile time only)
; SGPRBlocks: 0
; VGPRBlocks: 0
; NumSGPRsForWavesPerEU: 36
; NumVGPRsForWavesPerEU: 14
; NamedBarCnt: 0
; Occupancy: 16
; WaveLimiterHint : 1
; COMPUTE_PGM_RSRC2:SCRATCH_EN: 0
; COMPUTE_PGM_RSRC2:USER_SGPR: 2
; COMPUTE_PGM_RSRC2:TRAP_HANDLER: 0
; COMPUTE_PGM_RSRC2:TGID_X_EN: 1
; COMPUTE_PGM_RSRC2:TGID_Y_EN: 0
; COMPUTE_PGM_RSRC2:TGID_Z_EN: 0
; COMPUTE_PGM_RSRC2:TIDIG_COMP_CNT: 0
	.section	.text._ZN4vllm23rotary_embedding_kernelIN3c108BFloat16EfLb0EEEvPKlPT_S6_PKT0_illliiilb,"axG",@progbits,_ZN4vllm23rotary_embedding_kernelIN3c108BFloat16EfLb0EEEvPKlPT_S6_PKT0_illliiilb,comdat
	.protected	_ZN4vllm23rotary_embedding_kernelIN3c108BFloat16EfLb0EEEvPKlPT_S6_PKT0_illliiilb ; -- Begin function _ZN4vllm23rotary_embedding_kernelIN3c108BFloat16EfLb0EEEvPKlPT_S6_PKT0_illliiilb
	.globl	_ZN4vllm23rotary_embedding_kernelIN3c108BFloat16EfLb0EEEvPKlPT_S6_PKT0_illliiilb
	.p2align	8
	.type	_ZN4vllm23rotary_embedding_kernelIN3c108BFloat16EfLb0EEEvPKlPT_S6_PKT0_illliiilb,@function
_ZN4vllm23rotary_embedding_kernelIN3c108BFloat16EfLb0EEEvPKlPT_S6_PKT0_illliiilb: ; @_ZN4vllm23rotary_embedding_kernelIN3c108BFloat16EfLb0EEEvPKlPT_S6_PKT0_illliiilb
; %bb.0:
	s_clause 0x2
	s_load_b96 s[16:18], s[0:1], 0x18
	s_load_b96 s[12:14], s[0:1], 0x50
	s_load_b64 s[2:3], s[0:1], 0x0
	s_getreg_b32 s6, hwreg(HW_REG_IB_STS2, 6, 4)
	s_wait_kmcnt 0x0
	s_ashr_i32 s19, s18, 31
	s_bitcmp1_b32 s14, 0
	s_cselect_b32 s24, -1, 0
	s_bfe_u32 s4, ttmp6, 0x4000c
	s_and_b32 s5, ttmp6, 15
	s_add_co_i32 s4, s4, 1
	s_delay_alu instid0(SALU_CYCLE_1) | instskip(NEXT) | instid1(SALU_CYCLE_1)
	s_mul_i32 s4, ttmp9, s4
	s_add_co_i32 s5, s5, s4
	s_cmp_eq_u32 s6, 0
	s_cselect_b32 s20, ttmp9, s5
	s_delay_alu instid0(SALU_CYCLE_1) | instskip(NEXT) | instid1(SALU_CYCLE_1)
	s_ashr_i32 s21, s20, 31
	s_lshl_b64 s[4:5], s[20:21], 3
	s_delay_alu instid0(SALU_CYCLE_1) | instskip(SKIP_4) | instid1(SALU_CYCLE_1)
	s_add_nc_u64 s[2:3], s[2:3], s[4:5]
	s_load_b64 s[22:23], s[2:3], 0x0
	s_load_b256 s[4:11], s[0:1], 0x28
	s_wait_xcnt 0x0
	s_lshr_b32 s2, s18, 31
	s_add_co_i32 s2, s18, s2
	s_delay_alu instid0(SALU_CYCLE_1) | instskip(NEXT) | instid1(SALU_CYCLE_1)
	s_ashr_i32 s14, s2, 1
	s_ashr_i32 s15, s14, 31
	s_wait_kmcnt 0x0
	s_mul_u64 s[18:19], s[22:23], s[18:19]
	s_mul_i32 s3, s10, s14
	s_lshl_b64 s[18:19], s[18:19], 2
	s_mov_b32 s23, 0
	s_add_nc_u64 s[16:17], s[16:17], s[18:19]
	s_lshl_b64 s[18:19], s[14:15], 2
	s_mov_b32 s10, exec_lo
	s_add_nc_u64 s[18:19], s[16:17], s[18:19]
	v_cmpx_gt_i32_e64 s3, v0
	s_cbranch_execz .LBB13_3
; %bb.1:
	s_abs_i32 s25, s14
	s_clause 0x1
	s_load_b64 s[28:29], s[0:1], 0x8
	s_load_b32 s22, s[0:1], 0x6c
	s_cvt_f32_u32 s2, s25
	s_mul_u64 s[4:5], s[4:5], s[20:21]
	s_sub_co_i32 s33, 0, s25
	s_lshl_b64 s[4:5], s[4:5], 1
	v_rcp_iflag_f32_e32 v1, s2
	v_mov_b32_e32 v4, v0
	s_lshl_b64 s[30:31], s[12:13], 1
	s_lshl_b32 s27, s14, 1
	s_sub_co_i32 s26, 0, s14
	s_sub_co_i32 s27, 0, s27
	v_mov_b32_e32 v3, 0
	v_readfirstlane_b32 s2, v1
	v_lshlrev_b32_e32 v1, 1, v0
	s_mul_f32 s2, s2, 0x4f7ffffe
	s_wait_kmcnt 0x0
	s_add_nc_u64 s[4:5], s[28:29], s[4:5]
	s_and_b32 s28, s22, 0xffff
	s_cvt_u32_f32 s2, s2
	s_add_nc_u64 s[4:5], s[4:5], s[30:31]
	s_lshl_b32 s29, s28, 1
	s_mov_b32 s30, s23
	s_mul_i32 s33, s33, s2
	s_delay_alu instid0(SALU_CYCLE_1) | instskip(NEXT) | instid1(SALU_CYCLE_1)
	s_mul_hi_u32 s22, s2, s33
	s_add_co_i32 s22, s2, s22
.LBB13_2:                               ; =>This Inner Loop Header: Depth=1
	v_sub_nc_u32_e32 v2, 0, v4
	s_delay_alu instid0(VALU_DEP_1) | instskip(NEXT) | instid1(VALU_DEP_1)
	v_max_i32_e32 v2, v4, v2
	v_mul_u64_e32 v[6:7], s[22:23], v[2:3]
	s_delay_alu instid0(VALU_DEP_1) | instskip(NEXT) | instid1(VALU_DEP_1)
	v_mul_lo_u32 v5, v7, s25
	v_dual_add_nc_u32 v6, 1, v7 :: v_dual_sub_nc_u32 v2, v2, v5
	s_delay_alu instid0(VALU_DEP_1) | instskip(NEXT) | instid1(VALU_DEP_2)
	v_cmp_le_u32_e32 vcc_lo, s25, v2
	v_cndmask_b32_e32 v6, v7, v6, vcc_lo
	v_subrev_nc_u32_e32 v5, s25, v2
	s_delay_alu instid0(VALU_DEP_1) | instskip(NEXT) | instid1(VALU_DEP_3)
	v_dual_cndmask_b32 v2, v2, v5 :: v_dual_ashrrev_i32 v7, 31, v4
	v_add_nc_u32_e32 v5, 1, v6
	s_delay_alu instid0(VALU_DEP_2) | instskip(NEXT) | instid1(VALU_DEP_2)
	v_cmp_le_u32_e32 vcc_lo, s25, v2
	v_dual_cndmask_b32 v2, v6, v5, vcc_lo :: v_dual_bitop2_b32 v7, s15, v7 bitop3:0x14
	s_delay_alu instid0(VALU_DEP_1) | instskip(NEXT) | instid1(VALU_DEP_1)
	v_xor_b32_e32 v2, v2, v7
	v_sub_nc_u32_e32 v6, v2, v7
	s_delay_alu instid0(VALU_DEP_1) | instskip(NEXT) | instid1(VALU_DEP_1)
	v_mad_u32 v10, s27, v6, v1
	v_dual_add_nc_u32 v1, s29, v1 :: v_dual_ashrrev_i32 v11, 31, v10
	v_ashrrev_i32_e32 v7, 31, v6
	v_mad_u32 v5, s26, v6, v4
	v_add_nc_u32_e32 v4, s28, v4
	s_delay_alu instid0(VALU_DEP_3) | instskip(NEXT) | instid1(VALU_DEP_1)
	v_mul_u64_e32 v[8:9], s[8:9], v[6:7]
	v_lshl_add_u64 v[8:9], v[8:9], 1, s[4:5]
	s_delay_alu instid0(VALU_DEP_1)
	v_lshl_add_u64 v[6:7], v[10:11], 1, v[8:9]
	global_load_b32 v8, v[6:7], off
	s_clause 0x1
	global_load_b32 v10, v5, s[18:19] scale_offset
	global_load_b32 v2, v5, s[16:17] scale_offset
	s_wait_loadcnt 0x2
	v_and_b32_e32 v9, 0xffff0000, v8
	s_wait_loadcnt 0x1
	v_dual_lshlrev_b32 v8, 16, v8 :: v_dual_cndmask_b32 v10, v10, -v10, s24
	s_delay_alu instid0(VALU_DEP_1) | instskip(NEXT) | instid1(VALU_DEP_1)
	v_dual_mov_b32 v12, v9 :: v_dual_mov_b32 v13, v8
	v_pk_mul_f32 v[10:11], v[10:11], v[12:13] op_sel_hi:[0,1]
	s_wait_loadcnt 0x0
	s_delay_alu instid0(VALU_DEP_1) | instskip(SKIP_2) | instid1(VALU_DEP_1)
	v_pk_fma_f32 v[12:13], v[2:3], v[8:9], v[10:11] neg_lo:[0,0,1] neg_hi:[0,0,1]
	v_pk_fma_f32 v[8:9], v[2:3], v[8:9], v[10:11] op_sel_hi:[0,1,1]
	s_wait_xcnt 0x0
	v_dual_lshrrev_b32 v2, 16, v12 :: v_dual_lshrrev_b32 v5, 16, v9
	v_cmp_o_f32_e32 vcc_lo, v9, v9
	v_cmp_o_f32_e64 s2, v12, v12
	s_delay_alu instid0(VALU_DEP_3) | instskip(NEXT) | instid1(VALU_DEP_1)
	v_and_b32_e32 v5, 1, v5
	v_add3_u32 v5, v9, v5, 0x7fff
	s_delay_alu instid0(VALU_DEP_1) | instskip(NEXT) | instid1(VALU_DEP_1)
	v_dual_lshrrev_b32 v5, 16, v5 :: v_dual_bitop2_b32 v2, 1, v2 bitop3:0x40
	v_add3_u32 v2, v12, v2, 0x7fff
	s_delay_alu instid0(VALU_DEP_1) | instskip(SKIP_1) | instid1(VALU_DEP_2)
	v_dual_cndmask_b32 v5, 0x7fc0, v5 :: v_dual_lshrrev_b32 v2, 16, v2
	v_cmp_le_i32_e32 vcc_lo, s3, v4
	v_cndmask_b32_e64 v2, 0x7fc0, v2, s2
	s_or_b32 s30, vcc_lo, s30
	s_delay_alu instid0(VALU_DEP_1)
	v_perm_b32 v2, v5, v2, 0x5040100
	global_store_b32 v[6:7], v2, off
	s_wait_xcnt 0x0
	s_and_not1_b32 exec_lo, exec_lo, s30
	s_cbranch_execnz .LBB13_2
.LBB13_3:
	s_or_b32 exec_lo, exec_lo, s10
	s_load_b64 s[4:5], s[0:1], 0x10
	s_wait_kmcnt 0x0
	s_cmp_lg_u64 s[4:5], 0
	s_cbranch_scc0 .LBB13_7
; %bb.4:
	s_mul_i32 s10, s11, s14
	s_mov_b32 s2, exec_lo
	v_cmpx_gt_i32_e64 s10, v0
	s_cbranch_execz .LBB13_7
; %bb.5:
	s_abs_i32 s11, s14
	s_load_b32 s0, s[0:1], 0x6c
	s_cvt_f32_u32 s2, s11
	s_mul_u64 s[6:7], s[6:7], s[20:21]
	s_sub_co_i32 s20, 0, s11
	s_lshl_b64 s[6:7], s[6:7], 1
	v_rcp_iflag_f32_e32 v1, s2
	s_lshl_b64 s[12:13], s[12:13], 1
	s_mov_b32 s3, 0
	s_wait_xcnt 0x0
	s_sub_co_i32 s1, 0, s14
	s_lshl_b32 s14, s14, 1
	s_add_nc_u64 s[4:5], s[4:5], s[6:7]
	s_sub_co_i32 s6, 0, s14
	v_nop
	v_readfirstlane_b32 s2, v1
	v_dual_lshlrev_b32 v1, 1, v0 :: v_dual_mov_b32 v3, 0
	s_add_nc_u64 s[4:5], s[4:5], s[12:13]
	s_mov_b32 s13, s3
	s_mul_f32 s2, s2, 0x4f7ffffe
	s_wait_kmcnt 0x0
	s_and_b32 s7, s0, 0xffff
	s_delay_alu instid0(SALU_CYCLE_1) | instskip(SKIP_1) | instid1(SALU_CYCLE_2)
	s_cvt_u32_f32 s2, s2
	s_lshl_b32 s12, s7, 1
	s_mul_i32 s20, s20, s2
	s_delay_alu instid0(SALU_CYCLE_1) | instskip(NEXT) | instid1(SALU_CYCLE_1)
	s_mul_hi_u32 s0, s2, s20
	s_add_co_i32 s2, s2, s0
.LBB13_6:                               ; =>This Inner Loop Header: Depth=1
	v_sub_nc_u32_e32 v2, 0, v0
	s_delay_alu instid0(VALU_DEP_1) | instskip(NEXT) | instid1(VALU_DEP_1)
	v_max_i32_e32 v2, v0, v2
	v_mul_u64_e32 v[4:5], s[2:3], v[2:3]
	s_delay_alu instid0(VALU_DEP_1) | instskip(NEXT) | instid1(VALU_DEP_1)
	v_mul_lo_u32 v4, v5, s11
	v_dual_add_nc_u32 v6, 1, v5 :: v_dual_sub_nc_u32 v2, v2, v4
	s_delay_alu instid0(VALU_DEP_1) | instskip(NEXT) | instid1(VALU_DEP_2)
	v_cmp_le_u32_e32 vcc_lo, s11, v2
	v_cndmask_b32_e32 v5, v5, v6, vcc_lo
	v_subrev_nc_u32_e32 v4, s11, v2
	v_ashrrev_i32_e32 v6, 31, v0
	s_delay_alu instid0(VALU_DEP_2) | instskip(NEXT) | instid1(VALU_DEP_1)
	v_dual_cndmask_b32 v2, v2, v4, vcc_lo :: v_dual_add_nc_u32 v4, 1, v5
	v_cmp_le_u32_e32 vcc_lo, s11, v2
	s_delay_alu instid0(VALU_DEP_2) | instskip(NEXT) | instid1(VALU_DEP_1)
	v_dual_cndmask_b32 v2, v5, v4, vcc_lo :: v_dual_bitop2_b32 v6, s15, v6 bitop3:0x14
	v_xor_b32_e32 v2, v2, v6
	s_delay_alu instid0(VALU_DEP_1) | instskip(NEXT) | instid1(VALU_DEP_1)
	v_sub_nc_u32_e32 v4, v2, v6
	v_mad_u32 v8, s6, v4, v1
	s_delay_alu instid0(VALU_DEP_1) | instskip(SKIP_3) | instid1(VALU_DEP_3)
	v_dual_add_nc_u32 v1, s12, v1 :: v_dual_ashrrev_i32 v9, 31, v8
	v_ashrrev_i32_e32 v5, 31, v4
	v_mad_u32 v10, s1, v4, v0
	v_add_nc_u32_e32 v0, s7, v0
	v_mul_u64_e32 v[6:7], s[8:9], v[4:5]
	s_delay_alu instid0(VALU_DEP_1) | instskip(NEXT) | instid1(VALU_DEP_1)
	v_lshl_add_u64 v[6:7], v[6:7], 1, s[4:5]
	v_lshl_add_u64 v[4:5], v[8:9], 1, v[6:7]
	global_load_b32 v6, v[4:5], off
	s_clause 0x1
	global_load_b32 v8, v10, s[18:19] scale_offset
	global_load_b32 v2, v10, s[16:17] scale_offset
	s_wait_loadcnt 0x2
	v_and_b32_e32 v7, 0xffff0000, v6
	s_wait_loadcnt 0x1
	v_dual_lshlrev_b32 v6, 16, v6 :: v_dual_cndmask_b32 v8, v8, -v8, s24
	s_wait_xcnt 0x0
	s_delay_alu instid0(VALU_DEP_1) | instskip(NEXT) | instid1(VALU_DEP_1)
	v_dual_mov_b32 v10, v7 :: v_dual_mov_b32 v11, v6
	v_pk_mul_f32 v[8:9], v[8:9], v[10:11] op_sel_hi:[0,1]
	s_wait_loadcnt 0x0
	s_delay_alu instid0(VALU_DEP_1) | instskip(SKIP_1) | instid1(VALU_DEP_1)
	v_pk_fma_f32 v[10:11], v[2:3], v[6:7], v[8:9] neg_lo:[0,0,1] neg_hi:[0,0,1]
	v_pk_fma_f32 v[6:7], v[2:3], v[6:7], v[8:9] op_sel_hi:[0,1,1]
	v_dual_lshrrev_b32 v2, 16, v10 :: v_dual_lshrrev_b32 v6, 16, v7
	v_cmp_o_f32_e32 vcc_lo, v7, v7
	v_cmp_o_f32_e64 s0, v10, v10
	s_delay_alu instid0(VALU_DEP_3) | instskip(NEXT) | instid1(VALU_DEP_4)
	v_and_b32_e32 v2, 1, v2
	v_and_b32_e32 v6, 1, v6
	s_delay_alu instid0(VALU_DEP_2) | instskip(NEXT) | instid1(VALU_DEP_2)
	v_add3_u32 v2, v10, v2, 0x7fff
	v_add3_u32 v6, v7, v6, 0x7fff
	s_delay_alu instid0(VALU_DEP_2) | instskip(NEXT) | instid1(VALU_DEP_2)
	v_lshrrev_b32_e32 v2, 16, v2
	v_lshrrev_b32_e32 v6, 16, v6
	s_delay_alu instid0(VALU_DEP_2) | instskip(NEXT) | instid1(VALU_DEP_2)
	v_cndmask_b32_e64 v2, 0x7fc0, v2, s0
	v_cndmask_b32_e32 v6, 0x7fc0, v6, vcc_lo
	v_cmp_le_i32_e32 vcc_lo, s10, v0
	s_delay_alu instid0(VALU_DEP_2)
	v_perm_b32 v2, v6, v2, 0x5040100
	s_or_b32 s13, vcc_lo, s13
	global_store_b32 v[4:5], v2, off
	s_wait_xcnt 0x0
	s_and_not1_b32 exec_lo, exec_lo, s13
	s_cbranch_execnz .LBB13_6
.LBB13_7:
	s_endpgm
	.section	.rodata,"a",@progbits
	.p2align	6, 0x0
	.amdhsa_kernel _ZN4vllm23rotary_embedding_kernelIN3c108BFloat16EfLb0EEEvPKlPT_S6_PKT0_illliiilb
		.amdhsa_group_segment_fixed_size 0
		.amdhsa_private_segment_fixed_size 0
		.amdhsa_kernarg_size 352
		.amdhsa_user_sgpr_count 2
		.amdhsa_user_sgpr_dispatch_ptr 0
		.amdhsa_user_sgpr_queue_ptr 0
		.amdhsa_user_sgpr_kernarg_segment_ptr 1
		.amdhsa_user_sgpr_dispatch_id 0
		.amdhsa_user_sgpr_kernarg_preload_length 0
		.amdhsa_user_sgpr_kernarg_preload_offset 0
		.amdhsa_user_sgpr_private_segment_size 0
		.amdhsa_wavefront_size32 1
		.amdhsa_uses_dynamic_stack 0
		.amdhsa_enable_private_segment 0
		.amdhsa_system_sgpr_workgroup_id_x 1
		.amdhsa_system_sgpr_workgroup_id_y 0
		.amdhsa_system_sgpr_workgroup_id_z 0
		.amdhsa_system_sgpr_workgroup_info 0
		.amdhsa_system_vgpr_workitem_id 0
		.amdhsa_next_free_vgpr 14
		.amdhsa_next_free_sgpr 34
		.amdhsa_named_barrier_count 0
		.amdhsa_reserve_vcc 1
		.amdhsa_float_round_mode_32 0
		.amdhsa_float_round_mode_16_64 0
		.amdhsa_float_denorm_mode_32 3
		.amdhsa_float_denorm_mode_16_64 3
		.amdhsa_fp16_overflow 0
		.amdhsa_memory_ordered 1
		.amdhsa_forward_progress 1
		.amdhsa_inst_pref_size 11
		.amdhsa_round_robin_scheduling 0
		.amdhsa_exception_fp_ieee_invalid_op 0
		.amdhsa_exception_fp_denorm_src 0
		.amdhsa_exception_fp_ieee_div_zero 0
		.amdhsa_exception_fp_ieee_overflow 0
		.amdhsa_exception_fp_ieee_underflow 0
		.amdhsa_exception_fp_ieee_inexact 0
		.amdhsa_exception_int_div_zero 0
	.end_amdhsa_kernel
	.section	.text._ZN4vllm23rotary_embedding_kernelIN3c108BFloat16EfLb0EEEvPKlPT_S6_PKT0_illliiilb,"axG",@progbits,_ZN4vllm23rotary_embedding_kernelIN3c108BFloat16EfLb0EEEvPKlPT_S6_PKT0_illliiilb,comdat
.Lfunc_end13:
	.size	_ZN4vllm23rotary_embedding_kernelIN3c108BFloat16EfLb0EEEvPKlPT_S6_PKT0_illliiilb, .Lfunc_end13-_ZN4vllm23rotary_embedding_kernelIN3c108BFloat16EfLb0EEEvPKlPT_S6_PKT0_illliiilb
                                        ; -- End function
	.set _ZN4vllm23rotary_embedding_kernelIN3c108BFloat16EfLb0EEEvPKlPT_S6_PKT0_illliiilb.num_vgpr, 14
	.set _ZN4vllm23rotary_embedding_kernelIN3c108BFloat16EfLb0EEEvPKlPT_S6_PKT0_illliiilb.num_agpr, 0
	.set _ZN4vllm23rotary_embedding_kernelIN3c108BFloat16EfLb0EEEvPKlPT_S6_PKT0_illliiilb.numbered_sgpr, 34
	.set _ZN4vllm23rotary_embedding_kernelIN3c108BFloat16EfLb0EEEvPKlPT_S6_PKT0_illliiilb.num_named_barrier, 0
	.set _ZN4vllm23rotary_embedding_kernelIN3c108BFloat16EfLb0EEEvPKlPT_S6_PKT0_illliiilb.private_seg_size, 0
	.set _ZN4vllm23rotary_embedding_kernelIN3c108BFloat16EfLb0EEEvPKlPT_S6_PKT0_illliiilb.uses_vcc, 1
	.set _ZN4vllm23rotary_embedding_kernelIN3c108BFloat16EfLb0EEEvPKlPT_S6_PKT0_illliiilb.uses_flat_scratch, 0
	.set _ZN4vllm23rotary_embedding_kernelIN3c108BFloat16EfLb0EEEvPKlPT_S6_PKT0_illliiilb.has_dyn_sized_stack, 0
	.set _ZN4vllm23rotary_embedding_kernelIN3c108BFloat16EfLb0EEEvPKlPT_S6_PKT0_illliiilb.has_recursion, 0
	.set _ZN4vllm23rotary_embedding_kernelIN3c108BFloat16EfLb0EEEvPKlPT_S6_PKT0_illliiilb.has_indirect_call, 0
	.section	.AMDGPU.csdata,"",@progbits
; Kernel info:
; codeLenInByte = 1380
; TotalNumSgprs: 36
; NumVgprs: 14
; ScratchSize: 0
; MemoryBound: 0
; FloatMode: 240
; IeeeMode: 1
; LDSByteSize: 0 bytes/workgroup (compile time only)
; SGPRBlocks: 0
; VGPRBlocks: 0
; NumSGPRsForWavesPerEU: 36
; NumVGPRsForWavesPerEU: 14
; NamedBarCnt: 0
; Occupancy: 16
; WaveLimiterHint : 1
; COMPUTE_PGM_RSRC2:SCRATCH_EN: 0
; COMPUTE_PGM_RSRC2:USER_SGPR: 2
; COMPUTE_PGM_RSRC2:TRAP_HANDLER: 0
; COMPUTE_PGM_RSRC2:TGID_X_EN: 1
; COMPUTE_PGM_RSRC2:TGID_Y_EN: 0
; COMPUTE_PGM_RSRC2:TGID_Z_EN: 0
; COMPUTE_PGM_RSRC2:TIDIG_COMP_CNT: 0
	.section	.text._ZN4vllm23rotary_embedding_kernelIN3c108BFloat16ENS1_4HalfELb1EEEvPKlPT_S7_PKT0_illliiilb,"axG",@progbits,_ZN4vllm23rotary_embedding_kernelIN3c108BFloat16ENS1_4HalfELb1EEEvPKlPT_S7_PKT0_illliiilb,comdat
	.protected	_ZN4vllm23rotary_embedding_kernelIN3c108BFloat16ENS1_4HalfELb1EEEvPKlPT_S7_PKT0_illliiilb ; -- Begin function _ZN4vllm23rotary_embedding_kernelIN3c108BFloat16ENS1_4HalfELb1EEEvPKlPT_S7_PKT0_illliiilb
	.globl	_ZN4vllm23rotary_embedding_kernelIN3c108BFloat16ENS1_4HalfELb1EEEvPKlPT_S7_PKT0_illliiilb
	.p2align	8
	.type	_ZN4vllm23rotary_embedding_kernelIN3c108BFloat16ENS1_4HalfELb1EEEvPKlPT_S7_PKT0_illliiilb,@function
_ZN4vllm23rotary_embedding_kernelIN3c108BFloat16ENS1_4HalfELb1EEEvPKlPT_S7_PKT0_illliiilb: ; @_ZN4vllm23rotary_embedding_kernelIN3c108BFloat16ENS1_4HalfELb1EEEvPKlPT_S7_PKT0_illliiilb
; %bb.0:
	s_clause 0x2
	s_load_b96 s[16:18], s[0:1], 0x18
	s_load_b96 s[12:14], s[0:1], 0x50
	s_load_b64 s[2:3], s[0:1], 0x0
	s_getreg_b32 s6, hwreg(HW_REG_IB_STS2, 6, 4)
	s_mov_b32 s25, exec_lo
	s_wait_kmcnt 0x0
	s_ashr_i32 s19, s18, 31
	s_bitcmp1_b32 s14, 0
	s_cselect_b32 s24, -1, 0
	s_bfe_u32 s4, ttmp6, 0x4000c
	s_and_b32 s5, ttmp6, 15
	s_add_co_i32 s4, s4, 1
	s_delay_alu instid0(SALU_CYCLE_1) | instskip(NEXT) | instid1(SALU_CYCLE_1)
	s_mul_i32 s4, ttmp9, s4
	s_add_co_i32 s5, s5, s4
	s_cmp_eq_u32 s6, 0
	s_cselect_b32 s20, ttmp9, s5
	s_delay_alu instid0(SALU_CYCLE_1) | instskip(NEXT) | instid1(SALU_CYCLE_1)
	s_ashr_i32 s21, s20, 31
	s_lshl_b64 s[4:5], s[20:21], 3
	s_delay_alu instid0(SALU_CYCLE_1) | instskip(SKIP_4) | instid1(SALU_CYCLE_1)
	s_add_nc_u64 s[2:3], s[2:3], s[4:5]
	s_load_b64 s[22:23], s[2:3], 0x0
	s_load_b256 s[4:11], s[0:1], 0x28
	s_wait_xcnt 0x0
	s_lshr_b32 s2, s18, 31
	s_add_co_i32 s2, s18, s2
	s_delay_alu instid0(SALU_CYCLE_1) | instskip(NEXT) | instid1(SALU_CYCLE_1)
	s_ashr_i32 s14, s2, 1
	s_ashr_i32 s15, s14, 31
	s_wait_kmcnt 0x0
	s_mul_u64 s[2:3], s[22:23], s[18:19]
	s_mul_i32 s10, s10, s14
	s_lshl_b64 s[2:3], s[2:3], 1
	s_mov_b32 s23, 0
	s_add_nc_u64 s[16:17], s[16:17], s[2:3]
	s_lshl_b64 s[2:3], s[14:15], 1
	s_delay_alu instid0(SALU_CYCLE_1)
	s_add_nc_u64 s[18:19], s[16:17], s[2:3]
	v_cmpx_gt_i32_e64 s10, v0
	s_cbranch_execz .LBB14_3
; %bb.1:
	s_abs_i32 s26, s14
	s_load_b64 s[2:3], s[0:1], 0x8
	s_cvt_f32_u32 s22, s26
	s_mul_u64 s[4:5], s[4:5], s[20:21]
	v_mov_b32_e32 v3, 0
	s_lshl_b64 s[4:5], s[4:5], 1
	v_rcp_iflag_f32_e32 v1, s22
	s_load_b32 s22, s[0:1], 0x6c
	s_lshl_b64 s[30:31], s[12:13], 1
	s_ashr_i32 s27, s14, 31
	v_nop
	s_delay_alu instid0(TRANS32_DEP_1)
	v_readfirstlane_b32 s28, v1
	v_mov_b32_e32 v1, v0
	s_mul_f32 s29, s28, 0x4f7ffffe
	s_sub_co_i32 s28, 0, s14
	s_wait_kmcnt 0x0
	s_add_nc_u64 s[2:3], s[2:3], s[4:5]
	s_cvt_u32_f32 s33, s29
	s_sub_co_i32 s29, 0, s26
	s_delay_alu instid0(SALU_CYCLE_2)
	s_mul_i32 s4, s29, s33
	s_and_b32 s29, s22, 0xffff
	s_mul_hi_u32 s22, s33, s4
	s_add_nc_u64 s[4:5], s[2:3], s[30:31]
	s_add_co_i32 s22, s33, s22
	s_mov_b32 s30, s23
.LBB14_2:                               ; =>This Inner Loop Header: Depth=1
	v_sub_nc_u32_e32 v2, 0, v1
	s_delay_alu instid0(VALU_DEP_1) | instskip(NEXT) | instid1(VALU_DEP_1)
	v_max_i32_e32 v2, v1, v2
	v_mul_u64_e32 v[4:5], s[22:23], v[2:3]
	s_delay_alu instid0(VALU_DEP_1) | instskip(NEXT) | instid1(VALU_DEP_1)
	v_mul_lo_u32 v4, v5, s26
	v_dual_add_nc_u32 v6, 1, v5 :: v_dual_sub_nc_u32 v2, v2, v4
	s_delay_alu instid0(VALU_DEP_1) | instskip(NEXT) | instid1(VALU_DEP_2)
	v_cmp_le_u32_e32 vcc_lo, s26, v2
	v_dual_cndmask_b32 v5, v5, v6 :: v_dual_ashrrev_i32 v6, 31, v1
	v_subrev_nc_u32_e32 v4, s26, v2
	s_delay_alu instid0(VALU_DEP_1) | instskip(NEXT) | instid1(VALU_DEP_1)
	v_dual_cndmask_b32 v2, v2, v4, vcc_lo :: v_dual_add_nc_u32 v4, 1, v5
	v_cmp_le_u32_e32 vcc_lo, s26, v2
	s_delay_alu instid0(VALU_DEP_2) | instskip(NEXT) | instid1(VALU_DEP_1)
	v_dual_cndmask_b32 v2, v5, v4, vcc_lo :: v_dual_bitop2_b32 v6, s27, v6 bitop3:0x14
	v_xor_b32_e32 v2, v2, v6
	s_delay_alu instid0(VALU_DEP_1) | instskip(NEXT) | instid1(VALU_DEP_1)
	v_sub_nc_u32_e32 v4, v2, v6
	v_ashrrev_i32_e32 v5, 31, v4
	s_delay_alu instid0(VALU_DEP_1)
	v_mul_u64_e32 v[6:7], s[8:9], v[4:5]
	v_mad_u32 v4, s28, v4, v1
	s_clause 0x1
	global_load_u16 v2, v4, s[18:19] scale_offset
	global_load_u16 v8, v4, s[16:17] scale_offset
	v_lshl_add_u64 v[6:7], v[6:7], 1, s[4:5]
	s_wait_loadcnt 0x1
	v_cvt_f32_f16_e32 v2, v2
	v_ashrrev_i32_e32 v5, 31, v4
	s_wait_loadcnt 0x0
	v_cvt_f32_f16_e32 v8, v8
	s_delay_alu instid0(VALU_DEP_3) | instskip(SKIP_2) | instid1(VALU_DEP_3)
	v_cndmask_b32_e64 v9, v2, -v2, s24
	s_wait_xcnt 0x0
	v_lshl_add_u64 v[4:5], v[4:5], 1, v[6:7]
	v_mov_b32_e32 v11, v8
	s_delay_alu instid0(VALU_DEP_2)
	v_lshl_add_u64 v[6:7], s[14:15], 1, v[4:5]
	s_clause 0x1
	global_load_u16 v12, v[4:5], off
	global_load_u16 v13, v[6:7], off
	s_wait_loadcnt 0x1
	v_dual_mov_b32 v10, v9 :: v_dual_lshlrev_b32 v12, 16, v12
	s_wait_loadcnt 0x0
	v_lshlrev_b32_e32 v13, 16, v13
	s_delay_alu instid0(VALU_DEP_1) | instskip(NEXT) | instid1(VALU_DEP_3)
	v_pk_mul_f32 v[8:9], v[8:9], v[12:13]
	v_pk_mul_f32 v[10:11], v[10:11], v[12:13]
	s_delay_alu instid0(VALU_DEP_1) | instskip(NEXT) | instid1(VALU_DEP_1)
	v_dual_sub_f32 v2, v8, v9 :: v_dual_add_f32 v8, v10, v11
	v_bfe_u32 v9, v2, 16, 1
	s_delay_alu instid0(VALU_DEP_2) | instskip(SKIP_1) | instid1(VALU_DEP_3)
	v_bfe_u32 v10, v8, 16, 1
	v_cmp_o_f32_e64 s2, v8, v8
	v_add3_u32 v9, v2, v9, 0x7fff
	s_delay_alu instid0(VALU_DEP_3) | instskip(SKIP_1) | instid1(VALU_DEP_3)
	v_add3_u32 v10, v8, v10, 0x7fff
	v_add_nc_u32_e32 v1, s29, v1
	v_lshrrev_b32_e32 v9, 16, v9
	v_cmp_o_f32_e64 s3, v2, v2
	s_delay_alu instid0(VALU_DEP_4) | instskip(NEXT) | instid1(VALU_DEP_4)
	v_lshrrev_b32_e32 v10, 16, v10
	v_cmp_le_i32_e32 vcc_lo, s10, v1
	s_delay_alu instid0(VALU_DEP_3) | instskip(NEXT) | instid1(VALU_DEP_3)
	v_cndmask_b32_e64 v2, 0x7fc0, v9, s3
	v_cndmask_b32_e64 v8, 0x7fc0, v10, s2
	s_or_b32 s30, vcc_lo, s30
	s_clause 0x1
	global_store_b16 v[4:5], v2, off
	global_store_b16 v[6:7], v8, off
	s_wait_xcnt 0x0
	s_and_not1_b32 exec_lo, exec_lo, s30
	s_cbranch_execnz .LBB14_2
.LBB14_3:
	s_or_b32 exec_lo, exec_lo, s25
	s_load_b64 s[4:5], s[0:1], 0x10
	s_wait_kmcnt 0x0
	s_cmp_lg_u64 s[4:5], 0
	s_cbranch_scc0 .LBB14_7
; %bb.4:
	s_mul_i32 s10, s11, s14
	s_mov_b32 s2, exec_lo
	v_cmpx_gt_i32_e64 s10, v0
	s_cbranch_execz .LBB14_7
; %bb.5:
	s_abs_i32 s11, s14
	s_lshl_b64 s[12:13], s[12:13], 1
	s_cvt_f32_u32 s2, s11
	v_mov_b32_e32 v3, 0
	s_delay_alu instid0(SALU_CYCLE_2)
	v_rcp_iflag_f32_e32 v1, s2
	s_load_b32 s2, s[0:1], 0x6c
	s_wait_xcnt 0x0
	s_mul_u64 s[0:1], s[6:7], s[20:21]
	s_sub_co_i32 s21, 0, s11
	s_lshl_b64 s[0:1], s[0:1], 1
	s_ashr_i32 s6, s14, 31
	s_add_nc_u64 s[0:1], s[4:5], s[0:1]
	v_nop
	v_readfirstlane_b32 s3, v1
	s_add_nc_u64 s[4:5], s[0:1], s[12:13]
	s_sub_co_i32 s7, 0, s14
	s_mul_f32 s20, s3, 0x4f7ffffe
	s_mov_b32 s3, 0
	s_delay_alu instid0(SALU_CYCLE_1) | instskip(NEXT) | instid1(SALU_CYCLE_1)
	s_mov_b32 s13, s3
	s_cvt_u32_f32 s20, s20
	s_delay_alu instid0(SALU_CYCLE_3) | instskip(SKIP_3) | instid1(SALU_CYCLE_1)
	s_mul_i32 s21, s21, s20
	s_wait_kmcnt 0x0
	s_and_b32 s12, s2, 0xffff
	s_mul_hi_u32 s0, s20, s21
	s_add_co_i32 s2, s20, s0
.LBB14_6:                               ; =>This Inner Loop Header: Depth=1
	v_sub_nc_u32_e32 v1, 0, v0
	s_delay_alu instid0(VALU_DEP_1) | instskip(NEXT) | instid1(VALU_DEP_1)
	v_max_i32_e32 v2, v0, v1
	v_mul_u64_e32 v[4:5], s[2:3], v[2:3]
	s_delay_alu instid0(VALU_DEP_1) | instskip(SKIP_1) | instid1(VALU_DEP_2)
	v_mul_lo_u32 v1, v5, s11
	v_add_nc_u32_e32 v4, 1, v5
	v_sub_nc_u32_e32 v1, v2, v1
	s_delay_alu instid0(VALU_DEP_1) | instskip(NEXT) | instid1(VALU_DEP_3)
	v_cmp_le_u32_e32 vcc_lo, s11, v1
	v_cndmask_b32_e32 v4, v5, v4, vcc_lo
	v_ashrrev_i32_e32 v5, 31, v0
	v_subrev_nc_u32_e32 v2, s11, v1
	s_delay_alu instid0(VALU_DEP_1) | instskip(NEXT) | instid1(VALU_DEP_1)
	v_dual_cndmask_b32 v1, v1, v2 :: v_dual_add_nc_u32 v2, 1, v4
	v_cmp_le_u32_e32 vcc_lo, s11, v1
	s_delay_alu instid0(VALU_DEP_2) | instskip(NEXT) | instid1(VALU_DEP_1)
	v_dual_cndmask_b32 v1, v4, v2, vcc_lo :: v_dual_bitop2_b32 v5, s6, v5 bitop3:0x14
	v_xor_b32_e32 v1, v1, v5
	s_delay_alu instid0(VALU_DEP_1) | instskip(NEXT) | instid1(VALU_DEP_1)
	v_sub_nc_u32_e32 v4, v1, v5
	v_ashrrev_i32_e32 v5, 31, v4
	s_delay_alu instid0(VALU_DEP_1)
	v_mul_u64_e32 v[6:7], s[8:9], v[4:5]
	v_mad_u32 v4, s7, v4, v0
	s_clause 0x1
	global_load_u16 v1, v4, s[18:19] scale_offset
	global_load_u16 v2, v4, s[16:17] scale_offset
	v_add_nc_u32_e32 v0, s12, v0
	s_delay_alu instid0(VALU_DEP_1)
	v_cmp_le_i32_e32 vcc_lo, s10, v0
	s_or_b32 s13, vcc_lo, s13
	v_lshl_add_u64 v[6:7], v[6:7], 1, s[4:5]
	s_wait_loadcnt 0x1
	v_cvt_f32_f16_e32 v1, v1
	v_ashrrev_i32_e32 v5, 31, v4
	s_wait_loadcnt 0x0
	v_cvt_f32_f16_e32 v8, v2
	s_delay_alu instid0(VALU_DEP_3) | instskip(SKIP_2) | instid1(VALU_DEP_3)
	v_cndmask_b32_e64 v9, v1, -v1, s24
	s_wait_xcnt 0x0
	v_lshl_add_u64 v[4:5], v[4:5], 1, v[6:7]
	v_mov_b32_e32 v11, v8
	s_delay_alu instid0(VALU_DEP_2)
	v_lshl_add_u64 v[6:7], s[14:15], 1, v[4:5]
	s_clause 0x1
	global_load_u16 v12, v[4:5], off
	global_load_u16 v13, v[6:7], off
	s_wait_loadcnt 0x1
	v_dual_mov_b32 v10, v9 :: v_dual_lshlrev_b32 v12, 16, v12
	s_wait_loadcnt 0x0
	v_lshlrev_b32_e32 v13, 16, v13
	s_delay_alu instid0(VALU_DEP_1) | instskip(NEXT) | instid1(VALU_DEP_1)
	v_pk_mul_f32 v[10:11], v[10:11], v[12:13]
	v_add_f32_e32 v2, v10, v11
	v_pk_mul_f32 v[8:9], v[8:9], v[12:13]
	s_delay_alu instid0(VALU_DEP_2) | instskip(NEXT) | instid1(VALU_DEP_2)
	v_cmp_o_f32_e64 s0, v2, v2
	v_sub_f32_e32 v1, v8, v9
	v_bfe_u32 v9, v2, 16, 1
	s_delay_alu instid0(VALU_DEP_2) | instskip(NEXT) | instid1(VALU_DEP_2)
	v_bfe_u32 v8, v1, 16, 1
	v_add3_u32 v9, v2, v9, 0x7fff
	v_cmp_o_f32_e64 s1, v1, v1
	s_delay_alu instid0(VALU_DEP_3) | instskip(NEXT) | instid1(VALU_DEP_1)
	v_add3_u32 v8, v1, v8, 0x7fff
	v_dual_lshrrev_b32 v9, 16, v9 :: v_dual_lshrrev_b32 v8, 16, v8
	s_delay_alu instid0(VALU_DEP_1) | instskip(NEXT) | instid1(VALU_DEP_2)
	v_cndmask_b32_e64 v2, 0x7fc0, v9, s0
	v_cndmask_b32_e64 v1, 0x7fc0, v8, s1
	s_clause 0x1
	global_store_b16 v[4:5], v1, off
	global_store_b16 v[6:7], v2, off
	s_wait_xcnt 0x0
	s_and_not1_b32 exec_lo, exec_lo, s13
	s_cbranch_execnz .LBB14_6
.LBB14_7:
	s_endpgm
	.section	.rodata,"a",@progbits
	.p2align	6, 0x0
	.amdhsa_kernel _ZN4vllm23rotary_embedding_kernelIN3c108BFloat16ENS1_4HalfELb1EEEvPKlPT_S7_PKT0_illliiilb
		.amdhsa_group_segment_fixed_size 0
		.amdhsa_private_segment_fixed_size 0
		.amdhsa_kernarg_size 352
		.amdhsa_user_sgpr_count 2
		.amdhsa_user_sgpr_dispatch_ptr 0
		.amdhsa_user_sgpr_queue_ptr 0
		.amdhsa_user_sgpr_kernarg_segment_ptr 1
		.amdhsa_user_sgpr_dispatch_id 0
		.amdhsa_user_sgpr_kernarg_preload_length 0
		.amdhsa_user_sgpr_kernarg_preload_offset 0
		.amdhsa_user_sgpr_private_segment_size 0
		.amdhsa_wavefront_size32 1
		.amdhsa_uses_dynamic_stack 0
		.amdhsa_enable_private_segment 0
		.amdhsa_system_sgpr_workgroup_id_x 1
		.amdhsa_system_sgpr_workgroup_id_y 0
		.amdhsa_system_sgpr_workgroup_id_z 0
		.amdhsa_system_sgpr_workgroup_info 0
		.amdhsa_system_vgpr_workitem_id 0
		.amdhsa_next_free_vgpr 14
		.amdhsa_next_free_sgpr 34
		.amdhsa_named_barrier_count 0
		.amdhsa_reserve_vcc 1
		.amdhsa_float_round_mode_32 0
		.amdhsa_float_round_mode_16_64 0
		.amdhsa_float_denorm_mode_32 3
		.amdhsa_float_denorm_mode_16_64 3
		.amdhsa_fp16_overflow 0
		.amdhsa_memory_ordered 1
		.amdhsa_forward_progress 1
		.amdhsa_inst_pref_size 12
		.amdhsa_round_robin_scheduling 0
		.amdhsa_exception_fp_ieee_invalid_op 0
		.amdhsa_exception_fp_denorm_src 0
		.amdhsa_exception_fp_ieee_div_zero 0
		.amdhsa_exception_fp_ieee_overflow 0
		.amdhsa_exception_fp_ieee_underflow 0
		.amdhsa_exception_fp_ieee_inexact 0
		.amdhsa_exception_int_div_zero 0
	.end_amdhsa_kernel
	.section	.text._ZN4vllm23rotary_embedding_kernelIN3c108BFloat16ENS1_4HalfELb1EEEvPKlPT_S7_PKT0_illliiilb,"axG",@progbits,_ZN4vllm23rotary_embedding_kernelIN3c108BFloat16ENS1_4HalfELb1EEEvPKlPT_S7_PKT0_illliiilb,comdat
.Lfunc_end14:
	.size	_ZN4vllm23rotary_embedding_kernelIN3c108BFloat16ENS1_4HalfELb1EEEvPKlPT_S7_PKT0_illliiilb, .Lfunc_end14-_ZN4vllm23rotary_embedding_kernelIN3c108BFloat16ENS1_4HalfELb1EEEvPKlPT_S7_PKT0_illliiilb
                                        ; -- End function
	.set _ZN4vllm23rotary_embedding_kernelIN3c108BFloat16ENS1_4HalfELb1EEEvPKlPT_S7_PKT0_illliiilb.num_vgpr, 14
	.set _ZN4vllm23rotary_embedding_kernelIN3c108BFloat16ENS1_4HalfELb1EEEvPKlPT_S7_PKT0_illliiilb.num_agpr, 0
	.set _ZN4vllm23rotary_embedding_kernelIN3c108BFloat16ENS1_4HalfELb1EEEvPKlPT_S7_PKT0_illliiilb.numbered_sgpr, 34
	.set _ZN4vllm23rotary_embedding_kernelIN3c108BFloat16ENS1_4HalfELb1EEEvPKlPT_S7_PKT0_illliiilb.num_named_barrier, 0
	.set _ZN4vllm23rotary_embedding_kernelIN3c108BFloat16ENS1_4HalfELb1EEEvPKlPT_S7_PKT0_illliiilb.private_seg_size, 0
	.set _ZN4vllm23rotary_embedding_kernelIN3c108BFloat16ENS1_4HalfELb1EEEvPKlPT_S7_PKT0_illliiilb.uses_vcc, 1
	.set _ZN4vllm23rotary_embedding_kernelIN3c108BFloat16ENS1_4HalfELb1EEEvPKlPT_S7_PKT0_illliiilb.uses_flat_scratch, 0
	.set _ZN4vllm23rotary_embedding_kernelIN3c108BFloat16ENS1_4HalfELb1EEEvPKlPT_S7_PKT0_illliiilb.has_dyn_sized_stack, 0
	.set _ZN4vllm23rotary_embedding_kernelIN3c108BFloat16ENS1_4HalfELb1EEEvPKlPT_S7_PKT0_illliiilb.has_recursion, 0
	.set _ZN4vllm23rotary_embedding_kernelIN3c108BFloat16ENS1_4HalfELb1EEEvPKlPT_S7_PKT0_illliiilb.has_indirect_call, 0
	.section	.AMDGPU.csdata,"",@progbits
; Kernel info:
; codeLenInByte = 1420
; TotalNumSgprs: 36
; NumVgprs: 14
; ScratchSize: 0
; MemoryBound: 0
; FloatMode: 240
; IeeeMode: 1
; LDSByteSize: 0 bytes/workgroup (compile time only)
; SGPRBlocks: 0
; VGPRBlocks: 0
; NumSGPRsForWavesPerEU: 36
; NumVGPRsForWavesPerEU: 14
; NamedBarCnt: 0
; Occupancy: 16
; WaveLimiterHint : 1
; COMPUTE_PGM_RSRC2:SCRATCH_EN: 0
; COMPUTE_PGM_RSRC2:USER_SGPR: 2
; COMPUTE_PGM_RSRC2:TRAP_HANDLER: 0
; COMPUTE_PGM_RSRC2:TGID_X_EN: 1
; COMPUTE_PGM_RSRC2:TGID_Y_EN: 0
; COMPUTE_PGM_RSRC2:TGID_Z_EN: 0
; COMPUTE_PGM_RSRC2:TIDIG_COMP_CNT: 0
	.section	.text._ZN4vllm23rotary_embedding_kernelIN3c108BFloat16ENS1_4HalfELb0EEEvPKlPT_S7_PKT0_illliiilb,"axG",@progbits,_ZN4vllm23rotary_embedding_kernelIN3c108BFloat16ENS1_4HalfELb0EEEvPKlPT_S7_PKT0_illliiilb,comdat
	.protected	_ZN4vllm23rotary_embedding_kernelIN3c108BFloat16ENS1_4HalfELb0EEEvPKlPT_S7_PKT0_illliiilb ; -- Begin function _ZN4vllm23rotary_embedding_kernelIN3c108BFloat16ENS1_4HalfELb0EEEvPKlPT_S7_PKT0_illliiilb
	.globl	_ZN4vllm23rotary_embedding_kernelIN3c108BFloat16ENS1_4HalfELb0EEEvPKlPT_S7_PKT0_illliiilb
	.p2align	8
	.type	_ZN4vllm23rotary_embedding_kernelIN3c108BFloat16ENS1_4HalfELb0EEEvPKlPT_S7_PKT0_illliiilb,@function
_ZN4vllm23rotary_embedding_kernelIN3c108BFloat16ENS1_4HalfELb0EEEvPKlPT_S7_PKT0_illliiilb: ; @_ZN4vllm23rotary_embedding_kernelIN3c108BFloat16ENS1_4HalfELb0EEEvPKlPT_S7_PKT0_illliiilb
; %bb.0:
	s_clause 0x2
	s_load_b96 s[16:18], s[0:1], 0x18
	s_load_b96 s[12:14], s[0:1], 0x50
	s_load_b64 s[2:3], s[0:1], 0x0
	s_getreg_b32 s6, hwreg(HW_REG_IB_STS2, 6, 4)
	s_wait_kmcnt 0x0
	s_ashr_i32 s19, s18, 31
	s_bitcmp1_b32 s14, 0
	s_cselect_b32 s24, -1, 0
	s_bfe_u32 s4, ttmp6, 0x4000c
	s_and_b32 s5, ttmp6, 15
	s_add_co_i32 s4, s4, 1
	s_delay_alu instid0(SALU_CYCLE_1) | instskip(NEXT) | instid1(SALU_CYCLE_1)
	s_mul_i32 s4, ttmp9, s4
	s_add_co_i32 s5, s5, s4
	s_cmp_eq_u32 s6, 0
	s_cselect_b32 s20, ttmp9, s5
	s_delay_alu instid0(SALU_CYCLE_1) | instskip(NEXT) | instid1(SALU_CYCLE_1)
	s_ashr_i32 s21, s20, 31
	s_lshl_b64 s[4:5], s[20:21], 3
	s_delay_alu instid0(SALU_CYCLE_1) | instskip(SKIP_4) | instid1(SALU_CYCLE_1)
	s_add_nc_u64 s[2:3], s[2:3], s[4:5]
	s_load_b64 s[22:23], s[2:3], 0x0
	s_load_b256 s[4:11], s[0:1], 0x28
	s_wait_xcnt 0x0
	s_lshr_b32 s2, s18, 31
	s_add_co_i32 s2, s18, s2
	s_delay_alu instid0(SALU_CYCLE_1) | instskip(NEXT) | instid1(SALU_CYCLE_1)
	s_ashr_i32 s14, s2, 1
	s_ashr_i32 s15, s14, 31
	s_wait_kmcnt 0x0
	s_mul_u64 s[18:19], s[22:23], s[18:19]
	s_mul_i32 s3, s10, s14
	s_lshl_b64 s[18:19], s[18:19], 1
	s_mov_b32 s23, 0
	s_add_nc_u64 s[16:17], s[16:17], s[18:19]
	s_lshl_b64 s[18:19], s[14:15], 1
	s_mov_b32 s10, exec_lo
	s_add_nc_u64 s[18:19], s[16:17], s[18:19]
	v_cmpx_gt_i32_e64 s3, v0
	s_cbranch_execz .LBB15_3
; %bb.1:
	s_abs_i32 s25, s14
	s_clause 0x1
	s_load_b64 s[28:29], s[0:1], 0x8
	s_load_b32 s22, s[0:1], 0x6c
	s_cvt_f32_u32 s2, s25
	s_mul_u64 s[4:5], s[4:5], s[20:21]
	s_sub_co_i32 s33, 0, s25
	s_lshl_b64 s[4:5], s[4:5], 1
	v_rcp_iflag_f32_e32 v1, s2
	v_mov_b32_e32 v4, v0
	s_lshl_b64 s[30:31], s[12:13], 1
	s_lshl_b32 s27, s14, 1
	s_sub_co_i32 s26, 0, s14
	s_sub_co_i32 s27, 0, s27
	v_mov_b32_e32 v3, 0
	v_readfirstlane_b32 s2, v1
	v_lshlrev_b32_e32 v1, 1, v0
	s_mul_f32 s2, s2, 0x4f7ffffe
	s_wait_kmcnt 0x0
	s_add_nc_u64 s[4:5], s[28:29], s[4:5]
	s_and_b32 s28, s22, 0xffff
	s_cvt_u32_f32 s2, s2
	s_add_nc_u64 s[4:5], s[4:5], s[30:31]
	s_lshl_b32 s29, s28, 1
	s_mov_b32 s30, s23
	s_mul_i32 s33, s33, s2
	s_delay_alu instid0(SALU_CYCLE_1) | instskip(NEXT) | instid1(SALU_CYCLE_1)
	s_mul_hi_u32 s22, s2, s33
	s_add_co_i32 s22, s2, s22
.LBB15_2:                               ; =>This Inner Loop Header: Depth=1
	v_sub_nc_u32_e32 v2, 0, v4
	s_delay_alu instid0(VALU_DEP_1) | instskip(NEXT) | instid1(VALU_DEP_1)
	v_max_i32_e32 v2, v4, v2
	v_mul_u64_e32 v[6:7], s[22:23], v[2:3]
	s_delay_alu instid0(VALU_DEP_1) | instskip(NEXT) | instid1(VALU_DEP_1)
	v_mul_lo_u32 v5, v7, s25
	v_dual_add_nc_u32 v6, 1, v7 :: v_dual_sub_nc_u32 v2, v2, v5
	s_delay_alu instid0(VALU_DEP_1) | instskip(NEXT) | instid1(VALU_DEP_2)
	v_cmp_le_u32_e32 vcc_lo, s25, v2
	v_cndmask_b32_e32 v6, v7, v6, vcc_lo
	v_subrev_nc_u32_e32 v5, s25, v2
	s_delay_alu instid0(VALU_DEP_1) | instskip(NEXT) | instid1(VALU_DEP_3)
	v_dual_cndmask_b32 v2, v2, v5 :: v_dual_ashrrev_i32 v7, 31, v4
	v_add_nc_u32_e32 v5, 1, v6
	s_delay_alu instid0(VALU_DEP_2) | instskip(NEXT) | instid1(VALU_DEP_2)
	v_cmp_le_u32_e32 vcc_lo, s25, v2
	v_dual_cndmask_b32 v2, v6, v5, vcc_lo :: v_dual_bitop2_b32 v7, s15, v7 bitop3:0x14
	s_delay_alu instid0(VALU_DEP_1) | instskip(NEXT) | instid1(VALU_DEP_1)
	v_xor_b32_e32 v2, v2, v7
	v_sub_nc_u32_e32 v6, v2, v7
	s_delay_alu instid0(VALU_DEP_1) | instskip(NEXT) | instid1(VALU_DEP_1)
	v_mad_u32 v10, s27, v6, v1
	v_dual_add_nc_u32 v1, s29, v1 :: v_dual_ashrrev_i32 v11, 31, v10
	v_ashrrev_i32_e32 v7, 31, v6
	v_mad_u32 v2, s26, v6, v4
	v_add_nc_u32_e32 v4, s28, v4
	s_delay_alu instid0(VALU_DEP_3) | instskip(NEXT) | instid1(VALU_DEP_1)
	v_mul_u64_e32 v[8:9], s[8:9], v[6:7]
	v_lshl_add_u64 v[6:7], v[8:9], 1, s[4:5]
	s_delay_alu instid0(VALU_DEP_1)
	v_lshl_add_u64 v[6:7], v[10:11], 1, v[6:7]
	s_clause 0x1
	global_load_u16 v5, v2, s[16:17] scale_offset
	global_load_u16 v8, v2, s[18:19] scale_offset
	global_load_b32 v10, v[6:7], off
	s_wait_loadcnt 0x2
	v_cvt_f32_f16_e32 v12, v5
	s_wait_loadcnt 0x1
	s_wait_xcnt 0x1
	v_cvt_f32_f16_e32 v2, v8
	s_wait_loadcnt 0x0
	v_and_b32_e32 v9, 0xffff0000, v10
	s_delay_alu instid0(VALU_DEP_1) | instskip(NEXT) | instid1(VALU_DEP_1)
	v_dual_lshlrev_b32 v8, 16, v10 :: v_dual_mov_b32 v10, v9
	v_dual_cndmask_b32 v2, v2, -v2, s24 :: v_dual_mov_b32 v11, v8
	s_delay_alu instid0(VALU_DEP_1) | instskip(NEXT) | instid1(VALU_DEP_1)
	v_pk_mul_f32 v[10:11], v[2:3], v[10:11] op_sel_hi:[0,1]
	v_pk_fma_f32 v[14:15], v[12:13], v[8:9], v[10:11] neg_lo:[0,0,1] neg_hi:[0,0,1]
	v_pk_fma_f32 v[8:9], v[12:13], v[8:9], v[10:11] op_sel_hi:[0,1,1]
	s_delay_alu instid0(VALU_DEP_1) | instskip(SKIP_2) | instid1(VALU_DEP_3)
	v_dual_lshrrev_b32 v2, 16, v14 :: v_dual_lshrrev_b32 v5, 16, v9
	v_cmp_o_f32_e32 vcc_lo, v9, v9
	v_cmp_o_f32_e64 s2, v14, v14
	v_and_b32_e32 v5, 1, v5
	s_delay_alu instid0(VALU_DEP_1) | instskip(NEXT) | instid1(VALU_DEP_1)
	v_add3_u32 v5, v9, v5, 0x7fff
	v_dual_lshrrev_b32 v5, 16, v5 :: v_dual_bitop2_b32 v2, 1, v2 bitop3:0x40
	s_delay_alu instid0(VALU_DEP_1) | instskip(NEXT) | instid1(VALU_DEP_1)
	v_add3_u32 v2, v14, v2, 0x7fff
	v_dual_cndmask_b32 v5, 0x7fc0, v5 :: v_dual_lshrrev_b32 v2, 16, v2
	v_cmp_le_i32_e32 vcc_lo, s3, v4
	s_delay_alu instid0(VALU_DEP_2) | instskip(SKIP_1) | instid1(VALU_DEP_1)
	v_cndmask_b32_e64 v2, 0x7fc0, v2, s2
	s_or_b32 s30, vcc_lo, s30
	v_perm_b32 v2, v5, v2, 0x5040100
	global_store_b32 v[6:7], v2, off
	s_wait_xcnt 0x0
	s_and_not1_b32 exec_lo, exec_lo, s30
	s_cbranch_execnz .LBB15_2
.LBB15_3:
	s_or_b32 exec_lo, exec_lo, s10
	s_load_b64 s[4:5], s[0:1], 0x10
	s_wait_kmcnt 0x0
	s_cmp_lg_u64 s[4:5], 0
	s_cbranch_scc0 .LBB15_7
; %bb.4:
	s_mul_i32 s10, s11, s14
	s_mov_b32 s2, exec_lo
	v_cmpx_gt_i32_e64 s10, v0
	s_cbranch_execz .LBB15_7
; %bb.5:
	s_abs_i32 s11, s14
	s_load_b32 s0, s[0:1], 0x6c
	s_cvt_f32_u32 s2, s11
	s_mul_u64 s[6:7], s[6:7], s[20:21]
	s_sub_co_i32 s20, 0, s11
	s_lshl_b64 s[6:7], s[6:7], 1
	v_rcp_iflag_f32_e32 v1, s2
	s_lshl_b64 s[12:13], s[12:13], 1
	s_mov_b32 s3, 0
	s_wait_xcnt 0x0
	s_sub_co_i32 s1, 0, s14
	s_lshl_b32 s14, s14, 1
	s_add_nc_u64 s[4:5], s[4:5], s[6:7]
	s_sub_co_i32 s6, 0, s14
	v_nop
	v_readfirstlane_b32 s2, v1
	v_dual_lshlrev_b32 v1, 1, v0 :: v_dual_mov_b32 v3, 0
	s_add_nc_u64 s[4:5], s[4:5], s[12:13]
	s_mov_b32 s13, s3
	s_mul_f32 s2, s2, 0x4f7ffffe
	s_wait_kmcnt 0x0
	s_and_b32 s7, s0, 0xffff
	s_delay_alu instid0(SALU_CYCLE_1) | instskip(SKIP_1) | instid1(SALU_CYCLE_2)
	s_cvt_u32_f32 s2, s2
	s_lshl_b32 s12, s7, 1
	s_mul_i32 s20, s20, s2
	s_delay_alu instid0(SALU_CYCLE_1) | instskip(NEXT) | instid1(SALU_CYCLE_1)
	s_mul_hi_u32 s0, s2, s20
	s_add_co_i32 s2, s2, s0
.LBB15_6:                               ; =>This Inner Loop Header: Depth=1
	v_sub_nc_u32_e32 v2, 0, v0
	s_delay_alu instid0(VALU_DEP_1) | instskip(NEXT) | instid1(VALU_DEP_1)
	v_max_i32_e32 v2, v0, v2
	v_mul_u64_e32 v[4:5], s[2:3], v[2:3]
	s_delay_alu instid0(VALU_DEP_1) | instskip(NEXT) | instid1(VALU_DEP_1)
	v_mul_lo_u32 v4, v5, s11
	v_dual_add_nc_u32 v6, 1, v5 :: v_dual_sub_nc_u32 v2, v2, v4
	s_delay_alu instid0(VALU_DEP_1) | instskip(NEXT) | instid1(VALU_DEP_2)
	v_cmp_le_u32_e32 vcc_lo, s11, v2
	v_cndmask_b32_e32 v5, v5, v6, vcc_lo
	v_subrev_nc_u32_e32 v4, s11, v2
	v_ashrrev_i32_e32 v6, 31, v0
	s_delay_alu instid0(VALU_DEP_2) | instskip(NEXT) | instid1(VALU_DEP_1)
	v_dual_cndmask_b32 v2, v2, v4, vcc_lo :: v_dual_add_nc_u32 v4, 1, v5
	v_cmp_le_u32_e32 vcc_lo, s11, v2
	s_delay_alu instid0(VALU_DEP_2) | instskip(NEXT) | instid1(VALU_DEP_1)
	v_dual_cndmask_b32 v2, v5, v4, vcc_lo :: v_dual_bitop2_b32 v6, s15, v6 bitop3:0x14
	v_xor_b32_e32 v2, v2, v6
	s_delay_alu instid0(VALU_DEP_1) | instskip(NEXT) | instid1(VALU_DEP_1)
	v_sub_nc_u32_e32 v4, v2, v6
	v_mad_u32 v8, s6, v4, v1
	s_delay_alu instid0(VALU_DEP_1) | instskip(SKIP_3) | instid1(VALU_DEP_3)
	v_dual_add_nc_u32 v1, s12, v1 :: v_dual_ashrrev_i32 v9, 31, v8
	v_ashrrev_i32_e32 v5, 31, v4
	v_mad_u32 v2, s1, v4, v0
	v_add_nc_u32_e32 v0, s7, v0
	v_mul_u64_e32 v[6:7], s[8:9], v[4:5]
	s_delay_alu instid0(VALU_DEP_1) | instskip(NEXT) | instid1(VALU_DEP_1)
	v_lshl_add_u64 v[4:5], v[6:7], 1, s[4:5]
	v_lshl_add_u64 v[4:5], v[8:9], 1, v[4:5]
	s_clause 0x1
	global_load_u16 v10, v2, s[16:17] scale_offset
	global_load_u16 v6, v2, s[18:19] scale_offset
	global_load_b32 v8, v[4:5], off
	s_wait_loadcnt 0x2
	v_cvt_f32_f16_e32 v10, v10
	s_wait_loadcnt 0x1
	s_wait_xcnt 0x1
	v_cvt_f32_f16_e32 v2, v6
	s_wait_loadcnt 0x0
	v_and_b32_e32 v7, 0xffff0000, v8
	s_delay_alu instid0(VALU_DEP_2) | instskip(NEXT) | instid1(VALU_DEP_1)
	v_dual_lshlrev_b32 v6, 16, v8 :: v_dual_cndmask_b32 v2, v2, -v2, s24
	v_dual_mov_b32 v8, v7 :: v_dual_mov_b32 v9, v6
	s_delay_alu instid0(VALU_DEP_1) | instskip(NEXT) | instid1(VALU_DEP_1)
	v_pk_mul_f32 v[8:9], v[2:3], v[8:9] op_sel_hi:[0,1]
	v_pk_fma_f32 v[12:13], v[10:11], v[6:7], v[8:9] neg_lo:[0,0,1] neg_hi:[0,0,1]
	v_pk_fma_f32 v[6:7], v[10:11], v[6:7], v[8:9] op_sel_hi:[0,1,1]
	s_delay_alu instid0(VALU_DEP_1) | instskip(SKIP_2) | instid1(VALU_DEP_3)
	v_dual_lshrrev_b32 v2, 16, v12 :: v_dual_lshrrev_b32 v6, 16, v7
	v_cmp_o_f32_e32 vcc_lo, v7, v7
	v_cmp_o_f32_e64 s0, v12, v12
	v_and_b32_e32 v2, 1, v2
	s_delay_alu instid0(VALU_DEP_4) | instskip(NEXT) | instid1(VALU_DEP_2)
	v_and_b32_e32 v6, 1, v6
	v_add3_u32 v2, v12, v2, 0x7fff
	s_delay_alu instid0(VALU_DEP_2) | instskip(NEXT) | instid1(VALU_DEP_2)
	v_add3_u32 v6, v7, v6, 0x7fff
	v_lshrrev_b32_e32 v2, 16, v2
	s_delay_alu instid0(VALU_DEP_2) | instskip(NEXT) | instid1(VALU_DEP_2)
	v_lshrrev_b32_e32 v6, 16, v6
	v_cndmask_b32_e64 v2, 0x7fc0, v2, s0
	s_delay_alu instid0(VALU_DEP_2) | instskip(SKIP_1) | instid1(VALU_DEP_2)
	v_cndmask_b32_e32 v6, 0x7fc0, v6, vcc_lo
	v_cmp_le_i32_e32 vcc_lo, s10, v0
	v_perm_b32 v2, v6, v2, 0x5040100
	s_or_b32 s13, vcc_lo, s13
	global_store_b32 v[4:5], v2, off
	s_wait_xcnt 0x0
	s_and_not1_b32 exec_lo, exec_lo, s13
	s_cbranch_execnz .LBB15_6
.LBB15_7:
	s_endpgm
	.section	.rodata,"a",@progbits
	.p2align	6, 0x0
	.amdhsa_kernel _ZN4vllm23rotary_embedding_kernelIN3c108BFloat16ENS1_4HalfELb0EEEvPKlPT_S7_PKT0_illliiilb
		.amdhsa_group_segment_fixed_size 0
		.amdhsa_private_segment_fixed_size 0
		.amdhsa_kernarg_size 352
		.amdhsa_user_sgpr_count 2
		.amdhsa_user_sgpr_dispatch_ptr 0
		.amdhsa_user_sgpr_queue_ptr 0
		.amdhsa_user_sgpr_kernarg_segment_ptr 1
		.amdhsa_user_sgpr_dispatch_id 0
		.amdhsa_user_sgpr_kernarg_preload_length 0
		.amdhsa_user_sgpr_kernarg_preload_offset 0
		.amdhsa_user_sgpr_private_segment_size 0
		.amdhsa_wavefront_size32 1
		.amdhsa_uses_dynamic_stack 0
		.amdhsa_enable_private_segment 0
		.amdhsa_system_sgpr_workgroup_id_x 1
		.amdhsa_system_sgpr_workgroup_id_y 0
		.amdhsa_system_sgpr_workgroup_id_z 0
		.amdhsa_system_sgpr_workgroup_info 0
		.amdhsa_system_vgpr_workitem_id 0
		.amdhsa_next_free_vgpr 16
		.amdhsa_next_free_sgpr 34
		.amdhsa_named_barrier_count 0
		.amdhsa_reserve_vcc 1
		.amdhsa_float_round_mode_32 0
		.amdhsa_float_round_mode_16_64 0
		.amdhsa_float_denorm_mode_32 3
		.amdhsa_float_denorm_mode_16_64 3
		.amdhsa_fp16_overflow 0
		.amdhsa_memory_ordered 1
		.amdhsa_forward_progress 1
		.amdhsa_inst_pref_size 11
		.amdhsa_round_robin_scheduling 0
		.amdhsa_exception_fp_ieee_invalid_op 0
		.amdhsa_exception_fp_denorm_src 0
		.amdhsa_exception_fp_ieee_div_zero 0
		.amdhsa_exception_fp_ieee_overflow 0
		.amdhsa_exception_fp_ieee_underflow 0
		.amdhsa_exception_fp_ieee_inexact 0
		.amdhsa_exception_int_div_zero 0
	.end_amdhsa_kernel
	.section	.text._ZN4vllm23rotary_embedding_kernelIN3c108BFloat16ENS1_4HalfELb0EEEvPKlPT_S7_PKT0_illliiilb,"axG",@progbits,_ZN4vllm23rotary_embedding_kernelIN3c108BFloat16ENS1_4HalfELb0EEEvPKlPT_S7_PKT0_illliiilb,comdat
.Lfunc_end15:
	.size	_ZN4vllm23rotary_embedding_kernelIN3c108BFloat16ENS1_4HalfELb0EEEvPKlPT_S7_PKT0_illliiilb, .Lfunc_end15-_ZN4vllm23rotary_embedding_kernelIN3c108BFloat16ENS1_4HalfELb0EEEvPKlPT_S7_PKT0_illliiilb
                                        ; -- End function
	.set _ZN4vllm23rotary_embedding_kernelIN3c108BFloat16ENS1_4HalfELb0EEEvPKlPT_S7_PKT0_illliiilb.num_vgpr, 16
	.set _ZN4vllm23rotary_embedding_kernelIN3c108BFloat16ENS1_4HalfELb0EEEvPKlPT_S7_PKT0_illliiilb.num_agpr, 0
	.set _ZN4vllm23rotary_embedding_kernelIN3c108BFloat16ENS1_4HalfELb0EEEvPKlPT_S7_PKT0_illliiilb.numbered_sgpr, 34
	.set _ZN4vllm23rotary_embedding_kernelIN3c108BFloat16ENS1_4HalfELb0EEEvPKlPT_S7_PKT0_illliiilb.num_named_barrier, 0
	.set _ZN4vllm23rotary_embedding_kernelIN3c108BFloat16ENS1_4HalfELb0EEEvPKlPT_S7_PKT0_illliiilb.private_seg_size, 0
	.set _ZN4vllm23rotary_embedding_kernelIN3c108BFloat16ENS1_4HalfELb0EEEvPKlPT_S7_PKT0_illliiilb.uses_vcc, 1
	.set _ZN4vllm23rotary_embedding_kernelIN3c108BFloat16ENS1_4HalfELb0EEEvPKlPT_S7_PKT0_illliiilb.uses_flat_scratch, 0
	.set _ZN4vllm23rotary_embedding_kernelIN3c108BFloat16ENS1_4HalfELb0EEEvPKlPT_S7_PKT0_illliiilb.has_dyn_sized_stack, 0
	.set _ZN4vllm23rotary_embedding_kernelIN3c108BFloat16ENS1_4HalfELb0EEEvPKlPT_S7_PKT0_illliiilb.has_recursion, 0
	.set _ZN4vllm23rotary_embedding_kernelIN3c108BFloat16ENS1_4HalfELb0EEEvPKlPT_S7_PKT0_illliiilb.has_indirect_call, 0
	.section	.AMDGPU.csdata,"",@progbits
; Kernel info:
; codeLenInByte = 1400
; TotalNumSgprs: 36
; NumVgprs: 16
; ScratchSize: 0
; MemoryBound: 0
; FloatMode: 240
; IeeeMode: 1
; LDSByteSize: 0 bytes/workgroup (compile time only)
; SGPRBlocks: 0
; VGPRBlocks: 0
; NumSGPRsForWavesPerEU: 36
; NumVGPRsForWavesPerEU: 16
; NamedBarCnt: 0
; Occupancy: 16
; WaveLimiterHint : 1
; COMPUTE_PGM_RSRC2:SCRATCH_EN: 0
; COMPUTE_PGM_RSRC2:USER_SGPR: 2
; COMPUTE_PGM_RSRC2:TRAP_HANDLER: 0
; COMPUTE_PGM_RSRC2:TGID_X_EN: 1
; COMPUTE_PGM_RSRC2:TGID_Y_EN: 0
; COMPUTE_PGM_RSRC2:TGID_Z_EN: 0
; COMPUTE_PGM_RSRC2:TIDIG_COMP_CNT: 0
	.section	.text._ZN4vllm23rotary_embedding_kernelIN3c108BFloat16ES2_Lb1EEEvPKlPT_S6_PKT0_illliiilb,"axG",@progbits,_ZN4vllm23rotary_embedding_kernelIN3c108BFloat16ES2_Lb1EEEvPKlPT_S6_PKT0_illliiilb,comdat
	.protected	_ZN4vllm23rotary_embedding_kernelIN3c108BFloat16ES2_Lb1EEEvPKlPT_S6_PKT0_illliiilb ; -- Begin function _ZN4vllm23rotary_embedding_kernelIN3c108BFloat16ES2_Lb1EEEvPKlPT_S6_PKT0_illliiilb
	.globl	_ZN4vllm23rotary_embedding_kernelIN3c108BFloat16ES2_Lb1EEEvPKlPT_S6_PKT0_illliiilb
	.p2align	8
	.type	_ZN4vllm23rotary_embedding_kernelIN3c108BFloat16ES2_Lb1EEEvPKlPT_S6_PKT0_illliiilb,@function
_ZN4vllm23rotary_embedding_kernelIN3c108BFloat16ES2_Lb1EEEvPKlPT_S6_PKT0_illliiilb: ; @_ZN4vllm23rotary_embedding_kernelIN3c108BFloat16ES2_Lb1EEEvPKlPT_S6_PKT0_illliiilb
; %bb.0:
	s_clause 0x2
	s_load_b96 s[16:18], s[0:1], 0x18
	s_load_b96 s[12:14], s[0:1], 0x50
	s_load_b64 s[2:3], s[0:1], 0x0
	s_getreg_b32 s6, hwreg(HW_REG_IB_STS2, 6, 4)
	s_mov_b32 s25, exec_lo
	s_wait_kmcnt 0x0
	s_ashr_i32 s19, s18, 31
	s_bitcmp1_b32 s14, 0
	s_cselect_b32 s24, -1, 0
	s_bfe_u32 s4, ttmp6, 0x4000c
	s_and_b32 s5, ttmp6, 15
	s_add_co_i32 s4, s4, 1
	s_delay_alu instid0(SALU_CYCLE_1) | instskip(NEXT) | instid1(SALU_CYCLE_1)
	s_mul_i32 s4, ttmp9, s4
	s_add_co_i32 s5, s5, s4
	s_cmp_eq_u32 s6, 0
	s_cselect_b32 s20, ttmp9, s5
	s_delay_alu instid0(SALU_CYCLE_1) | instskip(NEXT) | instid1(SALU_CYCLE_1)
	s_ashr_i32 s21, s20, 31
	s_lshl_b64 s[4:5], s[20:21], 3
	s_delay_alu instid0(SALU_CYCLE_1) | instskip(SKIP_4) | instid1(SALU_CYCLE_1)
	s_add_nc_u64 s[2:3], s[2:3], s[4:5]
	s_load_b64 s[22:23], s[2:3], 0x0
	s_load_b256 s[4:11], s[0:1], 0x28
	s_wait_xcnt 0x0
	s_lshr_b32 s2, s18, 31
	s_add_co_i32 s2, s18, s2
	s_delay_alu instid0(SALU_CYCLE_1) | instskip(NEXT) | instid1(SALU_CYCLE_1)
	s_ashr_i32 s14, s2, 1
	s_ashr_i32 s15, s14, 31
	s_wait_kmcnt 0x0
	s_mul_u64 s[2:3], s[22:23], s[18:19]
	s_mul_i32 s10, s10, s14
	s_lshl_b64 s[2:3], s[2:3], 1
	s_mov_b32 s23, 0
	s_add_nc_u64 s[16:17], s[16:17], s[2:3]
	s_lshl_b64 s[2:3], s[14:15], 1
	s_delay_alu instid0(SALU_CYCLE_1)
	s_add_nc_u64 s[18:19], s[16:17], s[2:3]
	v_cmpx_gt_i32_e64 s10, v0
	s_cbranch_execz .LBB16_3
; %bb.1:
	s_abs_i32 s26, s14
	s_load_b64 s[2:3], s[0:1], 0x8
	s_cvt_f32_u32 s22, s26
	s_mul_u64 s[4:5], s[4:5], s[20:21]
	v_mov_b32_e32 v3, 0
	s_lshl_b64 s[4:5], s[4:5], 1
	v_rcp_iflag_f32_e32 v1, s22
	s_load_b32 s22, s[0:1], 0x6c
	s_lshl_b64 s[30:31], s[12:13], 1
	s_ashr_i32 s27, s14, 31
	v_nop
	s_delay_alu instid0(TRANS32_DEP_1)
	v_readfirstlane_b32 s28, v1
	v_mov_b32_e32 v1, v0
	s_mul_f32 s29, s28, 0x4f7ffffe
	s_sub_co_i32 s28, 0, s14
	s_wait_kmcnt 0x0
	s_add_nc_u64 s[2:3], s[2:3], s[4:5]
	s_cvt_u32_f32 s33, s29
	s_sub_co_i32 s29, 0, s26
	s_delay_alu instid0(SALU_CYCLE_2)
	s_mul_i32 s4, s29, s33
	s_and_b32 s29, s22, 0xffff
	s_mul_hi_u32 s22, s33, s4
	s_add_nc_u64 s[4:5], s[2:3], s[30:31]
	s_add_co_i32 s22, s33, s22
	s_mov_b32 s30, s23
.LBB16_2:                               ; =>This Inner Loop Header: Depth=1
	v_sub_nc_u32_e32 v2, 0, v1
	s_delay_alu instid0(VALU_DEP_1) | instskip(NEXT) | instid1(VALU_DEP_1)
	v_max_i32_e32 v2, v1, v2
	v_mul_u64_e32 v[4:5], s[22:23], v[2:3]
	s_delay_alu instid0(VALU_DEP_1) | instskip(NEXT) | instid1(VALU_DEP_1)
	v_mul_lo_u32 v4, v5, s26
	v_dual_add_nc_u32 v6, 1, v5 :: v_dual_sub_nc_u32 v2, v2, v4
	s_delay_alu instid0(VALU_DEP_1) | instskip(NEXT) | instid1(VALU_DEP_2)
	v_cmp_le_u32_e32 vcc_lo, s26, v2
	v_dual_cndmask_b32 v5, v5, v6 :: v_dual_ashrrev_i32 v6, 31, v1
	v_subrev_nc_u32_e32 v4, s26, v2
	s_delay_alu instid0(VALU_DEP_1) | instskip(NEXT) | instid1(VALU_DEP_1)
	v_dual_cndmask_b32 v2, v2, v4, vcc_lo :: v_dual_add_nc_u32 v4, 1, v5
	v_cmp_le_u32_e32 vcc_lo, s26, v2
	s_delay_alu instid0(VALU_DEP_2) | instskip(NEXT) | instid1(VALU_DEP_1)
	v_dual_cndmask_b32 v2, v5, v4, vcc_lo :: v_dual_bitop2_b32 v6, s27, v6 bitop3:0x14
	v_xor_b32_e32 v2, v2, v6
	s_delay_alu instid0(VALU_DEP_1) | instskip(NEXT) | instid1(VALU_DEP_1)
	v_sub_nc_u32_e32 v4, v2, v6
	v_ashrrev_i32_e32 v5, 31, v4
	s_delay_alu instid0(VALU_DEP_1)
	v_mul_u64_e32 v[6:7], s[8:9], v[4:5]
	v_mad_u32 v4, s28, v4, v1
	s_clause 0x1
	global_load_u16 v2, v4, s[18:19] scale_offset
	global_load_u16 v8, v4, s[16:17] scale_offset
	v_ashrrev_i32_e32 v5, 31, v4
	v_lshl_add_u64 v[6:7], v[6:7], 1, s[4:5]
	s_wait_loadcnt 0x1
	v_lshlrev_b32_e32 v2, 16, v2
	s_wait_xcnt 0x0
	s_delay_alu instid0(VALU_DEP_2) | instskip(SKIP_1) | instid1(VALU_DEP_2)
	v_lshl_add_u64 v[4:5], v[4:5], 1, v[6:7]
	s_wait_loadcnt 0x0
	v_dual_lshlrev_b32 v8, 16, v8 :: v_dual_cndmask_b32 v9, v2, -v2, s24
	s_delay_alu instid0(VALU_DEP_2)
	v_lshl_add_u64 v[6:7], s[14:15], 1, v[4:5]
	s_clause 0x1
	global_load_u16 v12, v[4:5], off
	global_load_u16 v13, v[6:7], off
	v_dual_mov_b32 v11, v8 :: v_dual_mov_b32 v10, v9
	s_wait_loadcnt 0x0
	v_dual_lshlrev_b32 v12, 16, v12 :: v_dual_lshlrev_b32 v13, 16, v13
	s_delay_alu instid0(VALU_DEP_1) | instskip(NEXT) | instid1(VALU_DEP_3)
	v_pk_mul_f32 v[8:9], v[8:9], v[12:13]
	v_pk_mul_f32 v[10:11], v[10:11], v[12:13]
	s_delay_alu instid0(VALU_DEP_1) | instskip(NEXT) | instid1(VALU_DEP_1)
	v_dual_sub_f32 v2, v8, v9 :: v_dual_add_f32 v8, v10, v11
	v_bfe_u32 v9, v2, 16, 1
	s_delay_alu instid0(VALU_DEP_2) | instskip(SKIP_1) | instid1(VALU_DEP_3)
	v_bfe_u32 v10, v8, 16, 1
	v_cmp_o_f32_e64 s2, v8, v8
	v_add3_u32 v9, v2, v9, 0x7fff
	s_delay_alu instid0(VALU_DEP_3) | instskip(SKIP_1) | instid1(VALU_DEP_3)
	v_add3_u32 v10, v8, v10, 0x7fff
	v_add_nc_u32_e32 v1, s29, v1
	v_lshrrev_b32_e32 v9, 16, v9
	v_cmp_o_f32_e64 s3, v2, v2
	s_delay_alu instid0(VALU_DEP_4) | instskip(NEXT) | instid1(VALU_DEP_4)
	v_lshrrev_b32_e32 v10, 16, v10
	v_cmp_le_i32_e32 vcc_lo, s10, v1
	s_delay_alu instid0(VALU_DEP_3) | instskip(NEXT) | instid1(VALU_DEP_3)
	v_cndmask_b32_e64 v2, 0x7fc0, v9, s3
	v_cndmask_b32_e64 v8, 0x7fc0, v10, s2
	s_or_b32 s30, vcc_lo, s30
	s_clause 0x1
	global_store_b16 v[4:5], v2, off
	global_store_b16 v[6:7], v8, off
	s_wait_xcnt 0x0
	s_and_not1_b32 exec_lo, exec_lo, s30
	s_cbranch_execnz .LBB16_2
.LBB16_3:
	s_or_b32 exec_lo, exec_lo, s25
	s_load_b64 s[4:5], s[0:1], 0x10
	s_wait_kmcnt 0x0
	s_cmp_lg_u64 s[4:5], 0
	s_cbranch_scc0 .LBB16_7
; %bb.4:
	s_mul_i32 s10, s11, s14
	s_mov_b32 s2, exec_lo
	v_cmpx_gt_i32_e64 s10, v0
	s_cbranch_execz .LBB16_7
; %bb.5:
	s_abs_i32 s11, s14
	s_lshl_b64 s[12:13], s[12:13], 1
	s_cvt_f32_u32 s2, s11
	v_mov_b32_e32 v3, 0
	s_delay_alu instid0(SALU_CYCLE_2)
	v_rcp_iflag_f32_e32 v1, s2
	s_load_b32 s2, s[0:1], 0x6c
	s_wait_xcnt 0x0
	s_mul_u64 s[0:1], s[6:7], s[20:21]
	s_sub_co_i32 s21, 0, s11
	s_lshl_b64 s[0:1], s[0:1], 1
	s_ashr_i32 s6, s14, 31
	s_add_nc_u64 s[0:1], s[4:5], s[0:1]
	v_nop
	v_readfirstlane_b32 s3, v1
	s_add_nc_u64 s[4:5], s[0:1], s[12:13]
	s_sub_co_i32 s7, 0, s14
	s_mul_f32 s20, s3, 0x4f7ffffe
	s_mov_b32 s3, 0
	s_delay_alu instid0(SALU_CYCLE_1) | instskip(NEXT) | instid1(SALU_CYCLE_1)
	s_mov_b32 s13, s3
	s_cvt_u32_f32 s20, s20
	s_delay_alu instid0(SALU_CYCLE_3) | instskip(SKIP_3) | instid1(SALU_CYCLE_1)
	s_mul_i32 s21, s21, s20
	s_wait_kmcnt 0x0
	s_and_b32 s12, s2, 0xffff
	s_mul_hi_u32 s0, s20, s21
	s_add_co_i32 s2, s20, s0
.LBB16_6:                               ; =>This Inner Loop Header: Depth=1
	v_sub_nc_u32_e32 v1, 0, v0
	s_delay_alu instid0(VALU_DEP_1) | instskip(NEXT) | instid1(VALU_DEP_1)
	v_max_i32_e32 v2, v0, v1
	v_mul_u64_e32 v[4:5], s[2:3], v[2:3]
	s_delay_alu instid0(VALU_DEP_1) | instskip(SKIP_1) | instid1(VALU_DEP_2)
	v_mul_lo_u32 v1, v5, s11
	v_add_nc_u32_e32 v4, 1, v5
	v_sub_nc_u32_e32 v1, v2, v1
	s_delay_alu instid0(VALU_DEP_1) | instskip(NEXT) | instid1(VALU_DEP_3)
	v_cmp_le_u32_e32 vcc_lo, s11, v1
	v_cndmask_b32_e32 v4, v5, v4, vcc_lo
	v_ashrrev_i32_e32 v5, 31, v0
	v_subrev_nc_u32_e32 v2, s11, v1
	s_delay_alu instid0(VALU_DEP_1) | instskip(NEXT) | instid1(VALU_DEP_1)
	v_dual_cndmask_b32 v1, v1, v2 :: v_dual_add_nc_u32 v2, 1, v4
	v_cmp_le_u32_e32 vcc_lo, s11, v1
	s_delay_alu instid0(VALU_DEP_2) | instskip(NEXT) | instid1(VALU_DEP_1)
	v_dual_cndmask_b32 v1, v4, v2, vcc_lo :: v_dual_bitop2_b32 v5, s6, v5 bitop3:0x14
	v_xor_b32_e32 v1, v1, v5
	s_delay_alu instid0(VALU_DEP_1) | instskip(NEXT) | instid1(VALU_DEP_1)
	v_sub_nc_u32_e32 v4, v1, v5
	v_ashrrev_i32_e32 v5, 31, v4
	s_delay_alu instid0(VALU_DEP_1)
	v_mul_u64_e32 v[6:7], s[8:9], v[4:5]
	v_mad_u32 v4, s7, v4, v0
	s_clause 0x1
	global_load_u16 v1, v4, s[18:19] scale_offset
	global_load_u16 v2, v4, s[16:17] scale_offset
	v_ashrrev_i32_e32 v5, 31, v4
	v_add_nc_u32_e32 v0, s12, v0
	s_delay_alu instid0(VALU_DEP_1)
	v_cmp_le_i32_e32 vcc_lo, s10, v0
	s_or_b32 s13, vcc_lo, s13
	v_lshl_add_u64 v[6:7], v[6:7], 1, s[4:5]
	s_wait_loadcnt 0x1
	v_lshlrev_b32_e32 v1, 16, v1
	s_wait_xcnt 0x0
	s_delay_alu instid0(VALU_DEP_2) | instskip(SKIP_1) | instid1(VALU_DEP_2)
	v_lshl_add_u64 v[4:5], v[4:5], 1, v[6:7]
	s_wait_loadcnt 0x0
	v_dual_lshlrev_b32 v8, 16, v2 :: v_dual_cndmask_b32 v9, v1, -v1, s24
	s_delay_alu instid0(VALU_DEP_2)
	v_lshl_add_u64 v[6:7], s[14:15], 1, v[4:5]
	s_clause 0x1
	global_load_u16 v12, v[4:5], off
	global_load_u16 v13, v[6:7], off
	v_dual_mov_b32 v11, v8 :: v_dual_mov_b32 v10, v9
	s_wait_loadcnt 0x0
	v_dual_lshlrev_b32 v12, 16, v12 :: v_dual_lshlrev_b32 v13, 16, v13
	s_delay_alu instid0(VALU_DEP_1) | instskip(NEXT) | instid1(VALU_DEP_1)
	v_pk_mul_f32 v[10:11], v[10:11], v[12:13]
	v_add_f32_e32 v2, v10, v11
	v_pk_mul_f32 v[8:9], v[8:9], v[12:13]
	s_delay_alu instid0(VALU_DEP_2) | instskip(NEXT) | instid1(VALU_DEP_2)
	v_cmp_o_f32_e64 s0, v2, v2
	v_sub_f32_e32 v1, v8, v9
	v_bfe_u32 v9, v2, 16, 1
	s_delay_alu instid0(VALU_DEP_2) | instskip(NEXT) | instid1(VALU_DEP_2)
	v_bfe_u32 v8, v1, 16, 1
	v_add3_u32 v9, v2, v9, 0x7fff
	v_cmp_o_f32_e64 s1, v1, v1
	s_delay_alu instid0(VALU_DEP_3) | instskip(NEXT) | instid1(VALU_DEP_1)
	v_add3_u32 v8, v1, v8, 0x7fff
	v_dual_lshrrev_b32 v9, 16, v9 :: v_dual_lshrrev_b32 v8, 16, v8
	s_delay_alu instid0(VALU_DEP_1) | instskip(NEXT) | instid1(VALU_DEP_2)
	v_cndmask_b32_e64 v2, 0x7fc0, v9, s0
	v_cndmask_b32_e64 v1, 0x7fc0, v8, s1
	s_clause 0x1
	global_store_b16 v[4:5], v1, off
	global_store_b16 v[6:7], v2, off
	s_wait_xcnt 0x0
	s_and_not1_b32 exec_lo, exec_lo, s13
	s_cbranch_execnz .LBB16_6
.LBB16_7:
	s_endpgm
	.section	.rodata,"a",@progbits
	.p2align	6, 0x0
	.amdhsa_kernel _ZN4vllm23rotary_embedding_kernelIN3c108BFloat16ES2_Lb1EEEvPKlPT_S6_PKT0_illliiilb
		.amdhsa_group_segment_fixed_size 0
		.amdhsa_private_segment_fixed_size 0
		.amdhsa_kernarg_size 352
		.amdhsa_user_sgpr_count 2
		.amdhsa_user_sgpr_dispatch_ptr 0
		.amdhsa_user_sgpr_queue_ptr 0
		.amdhsa_user_sgpr_kernarg_segment_ptr 1
		.amdhsa_user_sgpr_dispatch_id 0
		.amdhsa_user_sgpr_kernarg_preload_length 0
		.amdhsa_user_sgpr_kernarg_preload_offset 0
		.amdhsa_user_sgpr_private_segment_size 0
		.amdhsa_wavefront_size32 1
		.amdhsa_uses_dynamic_stack 0
		.amdhsa_enable_private_segment 0
		.amdhsa_system_sgpr_workgroup_id_x 1
		.amdhsa_system_sgpr_workgroup_id_y 0
		.amdhsa_system_sgpr_workgroup_id_z 0
		.amdhsa_system_sgpr_workgroup_info 0
		.amdhsa_system_vgpr_workitem_id 0
		.amdhsa_next_free_vgpr 14
		.amdhsa_next_free_sgpr 34
		.amdhsa_named_barrier_count 0
		.amdhsa_reserve_vcc 1
		.amdhsa_float_round_mode_32 0
		.amdhsa_float_round_mode_16_64 0
		.amdhsa_float_denorm_mode_32 3
		.amdhsa_float_denorm_mode_16_64 3
		.amdhsa_fp16_overflow 0
		.amdhsa_memory_ordered 1
		.amdhsa_forward_progress 1
		.amdhsa_inst_pref_size 12
		.amdhsa_round_robin_scheduling 0
		.amdhsa_exception_fp_ieee_invalid_op 0
		.amdhsa_exception_fp_denorm_src 0
		.amdhsa_exception_fp_ieee_div_zero 0
		.amdhsa_exception_fp_ieee_overflow 0
		.amdhsa_exception_fp_ieee_underflow 0
		.amdhsa_exception_fp_ieee_inexact 0
		.amdhsa_exception_int_div_zero 0
	.end_amdhsa_kernel
	.section	.text._ZN4vllm23rotary_embedding_kernelIN3c108BFloat16ES2_Lb1EEEvPKlPT_S6_PKT0_illliiilb,"axG",@progbits,_ZN4vllm23rotary_embedding_kernelIN3c108BFloat16ES2_Lb1EEEvPKlPT_S6_PKT0_illliiilb,comdat
.Lfunc_end16:
	.size	_ZN4vllm23rotary_embedding_kernelIN3c108BFloat16ES2_Lb1EEEvPKlPT_S6_PKT0_illliiilb, .Lfunc_end16-_ZN4vllm23rotary_embedding_kernelIN3c108BFloat16ES2_Lb1EEEvPKlPT_S6_PKT0_illliiilb
                                        ; -- End function
	.set _ZN4vllm23rotary_embedding_kernelIN3c108BFloat16ES2_Lb1EEEvPKlPT_S6_PKT0_illliiilb.num_vgpr, 14
	.set _ZN4vllm23rotary_embedding_kernelIN3c108BFloat16ES2_Lb1EEEvPKlPT_S6_PKT0_illliiilb.num_agpr, 0
	.set _ZN4vllm23rotary_embedding_kernelIN3c108BFloat16ES2_Lb1EEEvPKlPT_S6_PKT0_illliiilb.numbered_sgpr, 34
	.set _ZN4vllm23rotary_embedding_kernelIN3c108BFloat16ES2_Lb1EEEvPKlPT_S6_PKT0_illliiilb.num_named_barrier, 0
	.set _ZN4vllm23rotary_embedding_kernelIN3c108BFloat16ES2_Lb1EEEvPKlPT_S6_PKT0_illliiilb.private_seg_size, 0
	.set _ZN4vllm23rotary_embedding_kernelIN3c108BFloat16ES2_Lb1EEEvPKlPT_S6_PKT0_illliiilb.uses_vcc, 1
	.set _ZN4vllm23rotary_embedding_kernelIN3c108BFloat16ES2_Lb1EEEvPKlPT_S6_PKT0_illliiilb.uses_flat_scratch, 0
	.set _ZN4vllm23rotary_embedding_kernelIN3c108BFloat16ES2_Lb1EEEvPKlPT_S6_PKT0_illliiilb.has_dyn_sized_stack, 0
	.set _ZN4vllm23rotary_embedding_kernelIN3c108BFloat16ES2_Lb1EEEvPKlPT_S6_PKT0_illliiilb.has_recursion, 0
	.set _ZN4vllm23rotary_embedding_kernelIN3c108BFloat16ES2_Lb1EEEvPKlPT_S6_PKT0_illliiilb.has_indirect_call, 0
	.section	.AMDGPU.csdata,"",@progbits
; Kernel info:
; codeLenInByte = 1412
; TotalNumSgprs: 36
; NumVgprs: 14
; ScratchSize: 0
; MemoryBound: 0
; FloatMode: 240
; IeeeMode: 1
; LDSByteSize: 0 bytes/workgroup (compile time only)
; SGPRBlocks: 0
; VGPRBlocks: 0
; NumSGPRsForWavesPerEU: 36
; NumVGPRsForWavesPerEU: 14
; NamedBarCnt: 0
; Occupancy: 16
; WaveLimiterHint : 1
; COMPUTE_PGM_RSRC2:SCRATCH_EN: 0
; COMPUTE_PGM_RSRC2:USER_SGPR: 2
; COMPUTE_PGM_RSRC2:TRAP_HANDLER: 0
; COMPUTE_PGM_RSRC2:TGID_X_EN: 1
; COMPUTE_PGM_RSRC2:TGID_Y_EN: 0
; COMPUTE_PGM_RSRC2:TGID_Z_EN: 0
; COMPUTE_PGM_RSRC2:TIDIG_COMP_CNT: 0
	.section	.text._ZN4vllm23rotary_embedding_kernelIN3c108BFloat16ES2_Lb0EEEvPKlPT_S6_PKT0_illliiilb,"axG",@progbits,_ZN4vllm23rotary_embedding_kernelIN3c108BFloat16ES2_Lb0EEEvPKlPT_S6_PKT0_illliiilb,comdat
	.protected	_ZN4vllm23rotary_embedding_kernelIN3c108BFloat16ES2_Lb0EEEvPKlPT_S6_PKT0_illliiilb ; -- Begin function _ZN4vllm23rotary_embedding_kernelIN3c108BFloat16ES2_Lb0EEEvPKlPT_S6_PKT0_illliiilb
	.globl	_ZN4vllm23rotary_embedding_kernelIN3c108BFloat16ES2_Lb0EEEvPKlPT_S6_PKT0_illliiilb
	.p2align	8
	.type	_ZN4vllm23rotary_embedding_kernelIN3c108BFloat16ES2_Lb0EEEvPKlPT_S6_PKT0_illliiilb,@function
_ZN4vllm23rotary_embedding_kernelIN3c108BFloat16ES2_Lb0EEEvPKlPT_S6_PKT0_illliiilb: ; @_ZN4vllm23rotary_embedding_kernelIN3c108BFloat16ES2_Lb0EEEvPKlPT_S6_PKT0_illliiilb
; %bb.0:
	s_clause 0x2
	s_load_b96 s[16:18], s[0:1], 0x18
	s_load_b96 s[12:14], s[0:1], 0x50
	s_load_b64 s[2:3], s[0:1], 0x0
	s_getreg_b32 s6, hwreg(HW_REG_IB_STS2, 6, 4)
	s_wait_kmcnt 0x0
	s_ashr_i32 s19, s18, 31
	s_bitcmp1_b32 s14, 0
	s_cselect_b32 s24, -1, 0
	s_bfe_u32 s4, ttmp6, 0x4000c
	s_and_b32 s5, ttmp6, 15
	s_add_co_i32 s4, s4, 1
	s_delay_alu instid0(SALU_CYCLE_1) | instskip(NEXT) | instid1(SALU_CYCLE_1)
	s_mul_i32 s4, ttmp9, s4
	s_add_co_i32 s5, s5, s4
	s_cmp_eq_u32 s6, 0
	s_cselect_b32 s20, ttmp9, s5
	s_delay_alu instid0(SALU_CYCLE_1) | instskip(NEXT) | instid1(SALU_CYCLE_1)
	s_ashr_i32 s21, s20, 31
	s_lshl_b64 s[4:5], s[20:21], 3
	s_delay_alu instid0(SALU_CYCLE_1) | instskip(SKIP_4) | instid1(SALU_CYCLE_1)
	s_add_nc_u64 s[2:3], s[2:3], s[4:5]
	s_load_b64 s[22:23], s[2:3], 0x0
	s_load_b256 s[4:11], s[0:1], 0x28
	s_wait_xcnt 0x0
	s_lshr_b32 s2, s18, 31
	s_add_co_i32 s2, s18, s2
	s_delay_alu instid0(SALU_CYCLE_1) | instskip(NEXT) | instid1(SALU_CYCLE_1)
	s_ashr_i32 s14, s2, 1
	s_ashr_i32 s15, s14, 31
	s_wait_kmcnt 0x0
	s_mul_u64 s[18:19], s[22:23], s[18:19]
	s_mul_i32 s3, s10, s14
	s_lshl_b64 s[18:19], s[18:19], 1
	s_mov_b32 s23, 0
	s_add_nc_u64 s[16:17], s[16:17], s[18:19]
	s_lshl_b64 s[18:19], s[14:15], 1
	s_mov_b32 s10, exec_lo
	s_add_nc_u64 s[18:19], s[16:17], s[18:19]
	v_cmpx_gt_i32_e64 s3, v0
	s_cbranch_execz .LBB17_3
; %bb.1:
	s_abs_i32 s25, s14
	s_clause 0x1
	s_load_b64 s[28:29], s[0:1], 0x8
	s_load_b32 s22, s[0:1], 0x6c
	s_cvt_f32_u32 s2, s25
	s_mul_u64 s[4:5], s[4:5], s[20:21]
	s_sub_co_i32 s33, 0, s25
	s_lshl_b64 s[4:5], s[4:5], 1
	v_rcp_iflag_f32_e32 v1, s2
	v_mov_b32_e32 v4, v0
	s_lshl_b64 s[30:31], s[12:13], 1
	s_lshl_b32 s27, s14, 1
	s_sub_co_i32 s26, 0, s14
	s_sub_co_i32 s27, 0, s27
	v_mov_b32_e32 v3, 0
	v_readfirstlane_b32 s2, v1
	v_lshlrev_b32_e32 v1, 1, v0
	s_mul_f32 s2, s2, 0x4f7ffffe
	s_wait_kmcnt 0x0
	s_add_nc_u64 s[4:5], s[28:29], s[4:5]
	s_and_b32 s28, s22, 0xffff
	s_cvt_u32_f32 s2, s2
	s_add_nc_u64 s[4:5], s[4:5], s[30:31]
	s_lshl_b32 s29, s28, 1
	s_mov_b32 s30, s23
	s_mul_i32 s33, s33, s2
	s_delay_alu instid0(SALU_CYCLE_1) | instskip(NEXT) | instid1(SALU_CYCLE_1)
	s_mul_hi_u32 s22, s2, s33
	s_add_co_i32 s22, s2, s22
.LBB17_2:                               ; =>This Inner Loop Header: Depth=1
	v_sub_nc_u32_e32 v2, 0, v4
	s_delay_alu instid0(VALU_DEP_1) | instskip(NEXT) | instid1(VALU_DEP_1)
	v_max_i32_e32 v2, v4, v2
	v_mul_u64_e32 v[6:7], s[22:23], v[2:3]
	s_delay_alu instid0(VALU_DEP_1) | instskip(NEXT) | instid1(VALU_DEP_1)
	v_mul_lo_u32 v5, v7, s25
	v_dual_add_nc_u32 v6, 1, v7 :: v_dual_sub_nc_u32 v2, v2, v5
	s_delay_alu instid0(VALU_DEP_1) | instskip(NEXT) | instid1(VALU_DEP_2)
	v_cmp_le_u32_e32 vcc_lo, s25, v2
	v_cndmask_b32_e32 v6, v7, v6, vcc_lo
	v_subrev_nc_u32_e32 v5, s25, v2
	s_delay_alu instid0(VALU_DEP_1) | instskip(NEXT) | instid1(VALU_DEP_3)
	v_dual_cndmask_b32 v2, v2, v5 :: v_dual_ashrrev_i32 v7, 31, v4
	v_add_nc_u32_e32 v5, 1, v6
	s_delay_alu instid0(VALU_DEP_2) | instskip(NEXT) | instid1(VALU_DEP_2)
	v_cmp_le_u32_e32 vcc_lo, s25, v2
	v_dual_cndmask_b32 v2, v6, v5, vcc_lo :: v_dual_bitop2_b32 v7, s15, v7 bitop3:0x14
	s_delay_alu instid0(VALU_DEP_1) | instskip(NEXT) | instid1(VALU_DEP_1)
	v_xor_b32_e32 v2, v2, v7
	v_sub_nc_u32_e32 v6, v2, v7
	s_delay_alu instid0(VALU_DEP_1) | instskip(NEXT) | instid1(VALU_DEP_1)
	v_mad_u32 v10, s27, v6, v1
	v_dual_add_nc_u32 v1, s29, v1 :: v_dual_ashrrev_i32 v11, 31, v10
	v_ashrrev_i32_e32 v7, 31, v6
	v_mad_u32 v2, s26, v6, v4
	v_add_nc_u32_e32 v4, s28, v4
	s_delay_alu instid0(VALU_DEP_3) | instskip(NEXT) | instid1(VALU_DEP_1)
	v_mul_u64_e32 v[8:9], s[8:9], v[6:7]
	v_lshl_add_u64 v[6:7], v[8:9], 1, s[4:5]
	s_delay_alu instid0(VALU_DEP_1)
	v_lshl_add_u64 v[6:7], v[10:11], 1, v[6:7]
	s_clause 0x1
	global_load_u16 v5, v2, s[16:17] scale_offset
	global_load_u16 v8, v2, s[18:19] scale_offset
	global_load_b32 v10, v[6:7], off
	s_wait_loadcnt 0x1
	s_wait_xcnt 0x1
	v_dual_lshlrev_b32 v12, 16, v5 :: v_dual_lshlrev_b32 v2, 16, v8
	s_wait_loadcnt 0x0
	v_lshlrev_b32_e32 v8, 16, v10
	v_and_b32_e32 v9, 0xffff0000, v10
	s_delay_alu instid0(VALU_DEP_2) | instskip(NEXT) | instid1(VALU_DEP_2)
	v_dual_cndmask_b32 v2, v2, -v2, s24 :: v_dual_mov_b32 v11, v8
	v_mov_b32_e32 v10, v9
	s_delay_alu instid0(VALU_DEP_1) | instskip(NEXT) | instid1(VALU_DEP_1)
	v_pk_mul_f32 v[10:11], v[2:3], v[10:11] op_sel_hi:[0,1]
	v_pk_fma_f32 v[14:15], v[12:13], v[8:9], v[10:11] neg_lo:[0,0,1] neg_hi:[0,0,1]
	v_pk_fma_f32 v[8:9], v[12:13], v[8:9], v[10:11] op_sel_hi:[0,1,1]
	s_delay_alu instid0(VALU_DEP_1) | instskip(SKIP_2) | instid1(VALU_DEP_3)
	v_dual_lshrrev_b32 v2, 16, v14 :: v_dual_lshrrev_b32 v5, 16, v9
	v_cmp_o_f32_e32 vcc_lo, v9, v9
	v_cmp_o_f32_e64 s2, v14, v14
	v_and_b32_e32 v5, 1, v5
	s_delay_alu instid0(VALU_DEP_1) | instskip(NEXT) | instid1(VALU_DEP_1)
	v_add3_u32 v5, v9, v5, 0x7fff
	v_dual_lshrrev_b32 v5, 16, v5 :: v_dual_bitop2_b32 v2, 1, v2 bitop3:0x40
	s_delay_alu instid0(VALU_DEP_1) | instskip(NEXT) | instid1(VALU_DEP_1)
	v_add3_u32 v2, v14, v2, 0x7fff
	v_dual_cndmask_b32 v5, 0x7fc0, v5 :: v_dual_lshrrev_b32 v2, 16, v2
	v_cmp_le_i32_e32 vcc_lo, s3, v4
	s_delay_alu instid0(VALU_DEP_2) | instskip(SKIP_1) | instid1(VALU_DEP_1)
	v_cndmask_b32_e64 v2, 0x7fc0, v2, s2
	s_or_b32 s30, vcc_lo, s30
	v_perm_b32 v2, v5, v2, 0x5040100
	global_store_b32 v[6:7], v2, off
	s_wait_xcnt 0x0
	s_and_not1_b32 exec_lo, exec_lo, s30
	s_cbranch_execnz .LBB17_2
.LBB17_3:
	s_or_b32 exec_lo, exec_lo, s10
	s_load_b64 s[4:5], s[0:1], 0x10
	s_wait_kmcnt 0x0
	s_cmp_lg_u64 s[4:5], 0
	s_cbranch_scc0 .LBB17_7
; %bb.4:
	s_mul_i32 s10, s11, s14
	s_mov_b32 s2, exec_lo
	v_cmpx_gt_i32_e64 s10, v0
	s_cbranch_execz .LBB17_7
; %bb.5:
	s_abs_i32 s11, s14
	s_load_b32 s0, s[0:1], 0x6c
	s_cvt_f32_u32 s2, s11
	s_mul_u64 s[6:7], s[6:7], s[20:21]
	s_sub_co_i32 s20, 0, s11
	s_lshl_b64 s[6:7], s[6:7], 1
	v_rcp_iflag_f32_e32 v1, s2
	s_lshl_b64 s[12:13], s[12:13], 1
	s_mov_b32 s3, 0
	s_wait_xcnt 0x0
	s_sub_co_i32 s1, 0, s14
	s_lshl_b32 s14, s14, 1
	s_add_nc_u64 s[4:5], s[4:5], s[6:7]
	s_sub_co_i32 s6, 0, s14
	v_nop
	v_readfirstlane_b32 s2, v1
	v_dual_lshlrev_b32 v1, 1, v0 :: v_dual_mov_b32 v3, 0
	s_add_nc_u64 s[4:5], s[4:5], s[12:13]
	s_mov_b32 s13, s3
	s_mul_f32 s2, s2, 0x4f7ffffe
	s_wait_kmcnt 0x0
	s_and_b32 s7, s0, 0xffff
	s_delay_alu instid0(SALU_CYCLE_1) | instskip(SKIP_1) | instid1(SALU_CYCLE_2)
	s_cvt_u32_f32 s2, s2
	s_lshl_b32 s12, s7, 1
	s_mul_i32 s20, s20, s2
	s_delay_alu instid0(SALU_CYCLE_1) | instskip(NEXT) | instid1(SALU_CYCLE_1)
	s_mul_hi_u32 s0, s2, s20
	s_add_co_i32 s2, s2, s0
.LBB17_6:                               ; =>This Inner Loop Header: Depth=1
	v_sub_nc_u32_e32 v2, 0, v0
	s_delay_alu instid0(VALU_DEP_1) | instskip(NEXT) | instid1(VALU_DEP_1)
	v_max_i32_e32 v2, v0, v2
	v_mul_u64_e32 v[4:5], s[2:3], v[2:3]
	s_delay_alu instid0(VALU_DEP_1) | instskip(NEXT) | instid1(VALU_DEP_1)
	v_mul_lo_u32 v4, v5, s11
	v_dual_add_nc_u32 v6, 1, v5 :: v_dual_sub_nc_u32 v2, v2, v4
	s_delay_alu instid0(VALU_DEP_1) | instskip(NEXT) | instid1(VALU_DEP_2)
	v_cmp_le_u32_e32 vcc_lo, s11, v2
	v_cndmask_b32_e32 v5, v5, v6, vcc_lo
	v_subrev_nc_u32_e32 v4, s11, v2
	v_ashrrev_i32_e32 v6, 31, v0
	s_delay_alu instid0(VALU_DEP_2) | instskip(NEXT) | instid1(VALU_DEP_1)
	v_dual_cndmask_b32 v2, v2, v4, vcc_lo :: v_dual_add_nc_u32 v4, 1, v5
	v_cmp_le_u32_e32 vcc_lo, s11, v2
	s_delay_alu instid0(VALU_DEP_2) | instskip(NEXT) | instid1(VALU_DEP_1)
	v_dual_cndmask_b32 v2, v5, v4, vcc_lo :: v_dual_bitop2_b32 v6, s15, v6 bitop3:0x14
	v_xor_b32_e32 v2, v2, v6
	s_delay_alu instid0(VALU_DEP_1) | instskip(NEXT) | instid1(VALU_DEP_1)
	v_sub_nc_u32_e32 v4, v2, v6
	v_mad_u32 v8, s6, v4, v1
	s_delay_alu instid0(VALU_DEP_1) | instskip(SKIP_3) | instid1(VALU_DEP_3)
	v_dual_add_nc_u32 v1, s12, v1 :: v_dual_ashrrev_i32 v9, 31, v8
	v_ashrrev_i32_e32 v5, 31, v4
	v_mad_u32 v2, s1, v4, v0
	v_add_nc_u32_e32 v0, s7, v0
	v_mul_u64_e32 v[6:7], s[8:9], v[4:5]
	s_delay_alu instid0(VALU_DEP_1) | instskip(NEXT) | instid1(VALU_DEP_1)
	v_lshl_add_u64 v[4:5], v[6:7], 1, s[4:5]
	v_lshl_add_u64 v[4:5], v[8:9], 1, v[4:5]
	s_clause 0x1
	global_load_u16 v10, v2, s[16:17] scale_offset
	global_load_u16 v6, v2, s[18:19] scale_offset
	global_load_b32 v8, v[4:5], off
	s_wait_loadcnt 0x2
	v_lshlrev_b32_e32 v10, 16, v10
	s_wait_loadcnt 0x0
	s_wait_xcnt 0x1
	v_dual_lshlrev_b32 v2, 16, v6 :: v_dual_lshlrev_b32 v6, 16, v8
	v_and_b32_e32 v7, 0xffff0000, v8
	s_delay_alu instid0(VALU_DEP_2) | instskip(NEXT) | instid1(VALU_DEP_2)
	v_cndmask_b32_e64 v2, v2, -v2, s24
	v_dual_mov_b32 v9, v6 :: v_dual_mov_b32 v8, v7
	s_delay_alu instid0(VALU_DEP_1) | instskip(NEXT) | instid1(VALU_DEP_1)
	v_pk_mul_f32 v[8:9], v[2:3], v[8:9] op_sel_hi:[0,1]
	v_pk_fma_f32 v[12:13], v[10:11], v[6:7], v[8:9] neg_lo:[0,0,1] neg_hi:[0,0,1]
	v_pk_fma_f32 v[6:7], v[10:11], v[6:7], v[8:9] op_sel_hi:[0,1,1]
	s_delay_alu instid0(VALU_DEP_1) | instskip(SKIP_2) | instid1(VALU_DEP_3)
	v_dual_lshrrev_b32 v2, 16, v12 :: v_dual_lshrrev_b32 v6, 16, v7
	v_cmp_o_f32_e32 vcc_lo, v7, v7
	v_cmp_o_f32_e64 s0, v12, v12
	v_and_b32_e32 v2, 1, v2
	s_delay_alu instid0(VALU_DEP_4) | instskip(NEXT) | instid1(VALU_DEP_2)
	v_and_b32_e32 v6, 1, v6
	v_add3_u32 v2, v12, v2, 0x7fff
	s_delay_alu instid0(VALU_DEP_2) | instskip(NEXT) | instid1(VALU_DEP_2)
	v_add3_u32 v6, v7, v6, 0x7fff
	v_lshrrev_b32_e32 v2, 16, v2
	s_delay_alu instid0(VALU_DEP_2) | instskip(NEXT) | instid1(VALU_DEP_2)
	v_lshrrev_b32_e32 v6, 16, v6
	v_cndmask_b32_e64 v2, 0x7fc0, v2, s0
	s_delay_alu instid0(VALU_DEP_2) | instskip(SKIP_1) | instid1(VALU_DEP_2)
	v_cndmask_b32_e32 v6, 0x7fc0, v6, vcc_lo
	v_cmp_le_i32_e32 vcc_lo, s10, v0
	v_perm_b32 v2, v6, v2, 0x5040100
	s_or_b32 s13, vcc_lo, s13
	global_store_b32 v[4:5], v2, off
	s_wait_xcnt 0x0
	s_and_not1_b32 exec_lo, exec_lo, s13
	s_cbranch_execnz .LBB17_6
.LBB17_7:
	s_endpgm
	.section	.rodata,"a",@progbits
	.p2align	6, 0x0
	.amdhsa_kernel _ZN4vllm23rotary_embedding_kernelIN3c108BFloat16ES2_Lb0EEEvPKlPT_S6_PKT0_illliiilb
		.amdhsa_group_segment_fixed_size 0
		.amdhsa_private_segment_fixed_size 0
		.amdhsa_kernarg_size 352
		.amdhsa_user_sgpr_count 2
		.amdhsa_user_sgpr_dispatch_ptr 0
		.amdhsa_user_sgpr_queue_ptr 0
		.amdhsa_user_sgpr_kernarg_segment_ptr 1
		.amdhsa_user_sgpr_dispatch_id 0
		.amdhsa_user_sgpr_kernarg_preload_length 0
		.amdhsa_user_sgpr_kernarg_preload_offset 0
		.amdhsa_user_sgpr_private_segment_size 0
		.amdhsa_wavefront_size32 1
		.amdhsa_uses_dynamic_stack 0
		.amdhsa_enable_private_segment 0
		.amdhsa_system_sgpr_workgroup_id_x 1
		.amdhsa_system_sgpr_workgroup_id_y 0
		.amdhsa_system_sgpr_workgroup_id_z 0
		.amdhsa_system_sgpr_workgroup_info 0
		.amdhsa_system_vgpr_workitem_id 0
		.amdhsa_next_free_vgpr 16
		.amdhsa_next_free_sgpr 34
		.amdhsa_named_barrier_count 0
		.amdhsa_reserve_vcc 1
		.amdhsa_float_round_mode_32 0
		.amdhsa_float_round_mode_16_64 0
		.amdhsa_float_denorm_mode_32 3
		.amdhsa_float_denorm_mode_16_64 3
		.amdhsa_fp16_overflow 0
		.amdhsa_memory_ordered 1
		.amdhsa_forward_progress 1
		.amdhsa_inst_pref_size 11
		.amdhsa_round_robin_scheduling 0
		.amdhsa_exception_fp_ieee_invalid_op 0
		.amdhsa_exception_fp_denorm_src 0
		.amdhsa_exception_fp_ieee_div_zero 0
		.amdhsa_exception_fp_ieee_overflow 0
		.amdhsa_exception_fp_ieee_underflow 0
		.amdhsa_exception_fp_ieee_inexact 0
		.amdhsa_exception_int_div_zero 0
	.end_amdhsa_kernel
	.section	.text._ZN4vllm23rotary_embedding_kernelIN3c108BFloat16ES2_Lb0EEEvPKlPT_S6_PKT0_illliiilb,"axG",@progbits,_ZN4vllm23rotary_embedding_kernelIN3c108BFloat16ES2_Lb0EEEvPKlPT_S6_PKT0_illliiilb,comdat
.Lfunc_end17:
	.size	_ZN4vllm23rotary_embedding_kernelIN3c108BFloat16ES2_Lb0EEEvPKlPT_S6_PKT0_illliiilb, .Lfunc_end17-_ZN4vllm23rotary_embedding_kernelIN3c108BFloat16ES2_Lb0EEEvPKlPT_S6_PKT0_illliiilb
                                        ; -- End function
	.set _ZN4vllm23rotary_embedding_kernelIN3c108BFloat16ES2_Lb0EEEvPKlPT_S6_PKT0_illliiilb.num_vgpr, 16
	.set _ZN4vllm23rotary_embedding_kernelIN3c108BFloat16ES2_Lb0EEEvPKlPT_S6_PKT0_illliiilb.num_agpr, 0
	.set _ZN4vllm23rotary_embedding_kernelIN3c108BFloat16ES2_Lb0EEEvPKlPT_S6_PKT0_illliiilb.numbered_sgpr, 34
	.set _ZN4vllm23rotary_embedding_kernelIN3c108BFloat16ES2_Lb0EEEvPKlPT_S6_PKT0_illliiilb.num_named_barrier, 0
	.set _ZN4vllm23rotary_embedding_kernelIN3c108BFloat16ES2_Lb0EEEvPKlPT_S6_PKT0_illliiilb.private_seg_size, 0
	.set _ZN4vllm23rotary_embedding_kernelIN3c108BFloat16ES2_Lb0EEEvPKlPT_S6_PKT0_illliiilb.uses_vcc, 1
	.set _ZN4vllm23rotary_embedding_kernelIN3c108BFloat16ES2_Lb0EEEvPKlPT_S6_PKT0_illliiilb.uses_flat_scratch, 0
	.set _ZN4vllm23rotary_embedding_kernelIN3c108BFloat16ES2_Lb0EEEvPKlPT_S6_PKT0_illliiilb.has_dyn_sized_stack, 0
	.set _ZN4vllm23rotary_embedding_kernelIN3c108BFloat16ES2_Lb0EEEvPKlPT_S6_PKT0_illliiilb.has_recursion, 0
	.set _ZN4vllm23rotary_embedding_kernelIN3c108BFloat16ES2_Lb0EEEvPKlPT_S6_PKT0_illliiilb.has_indirect_call, 0
	.section	.AMDGPU.csdata,"",@progbits
; Kernel info:
; codeLenInByte = 1396
; TotalNumSgprs: 36
; NumVgprs: 16
; ScratchSize: 0
; MemoryBound: 0
; FloatMode: 240
; IeeeMode: 1
; LDSByteSize: 0 bytes/workgroup (compile time only)
; SGPRBlocks: 0
; VGPRBlocks: 0
; NumSGPRsForWavesPerEU: 36
; NumVGPRsForWavesPerEU: 16
; NamedBarCnt: 0
; Occupancy: 16
; WaveLimiterHint : 1
; COMPUTE_PGM_RSRC2:SCRATCH_EN: 0
; COMPUTE_PGM_RSRC2:USER_SGPR: 2
; COMPUTE_PGM_RSRC2:TRAP_HANDLER: 0
; COMPUTE_PGM_RSRC2:TGID_X_EN: 1
; COMPUTE_PGM_RSRC2:TGID_Y_EN: 0
; COMPUTE_PGM_RSRC2:TGID_Z_EN: 0
; COMPUTE_PGM_RSRC2:TIDIG_COMP_CNT: 0
	.section	.AMDGPU.gpr_maximums,"",@progbits
	.set amdgpu.max_num_vgpr, 0
	.set amdgpu.max_num_agpr, 0
	.set amdgpu.max_num_sgpr, 0
	.section	.AMDGPU.csdata,"",@progbits
	.type	__hip_cuid_17641b1a9eba49fd,@object ; @__hip_cuid_17641b1a9eba49fd
	.section	.bss,"aw",@nobits
	.globl	__hip_cuid_17641b1a9eba49fd
__hip_cuid_17641b1a9eba49fd:
	.byte	0                               ; 0x0
	.size	__hip_cuid_17641b1a9eba49fd, 1

	.ident	"AMD clang version 22.0.0git (https://github.com/RadeonOpenCompute/llvm-project roc-7.2.4 26084 f58b06dce1f9c15707c5f808fd002e18c2accf7e)"
	.section	".note.GNU-stack","",@progbits
	.addrsig
	.addrsig_sym __hip_cuid_17641b1a9eba49fd
	.amdgpu_metadata
---
amdhsa.kernels:
  - .args:
      - .actual_access:  read_only
        .address_space:  global
        .offset:         0
        .size:           8
        .value_kind:     global_buffer
      - .address_space:  global
        .offset:         8
        .size:           8
        .value_kind:     global_buffer
      - .address_space:  global
        .offset:         16
        .size:           8
        .value_kind:     global_buffer
      - .actual_access:  read_only
        .address_space:  global
        .offset:         24
        .size:           8
        .value_kind:     global_buffer
      - .offset:         32
        .size:           4
        .value_kind:     by_value
      - .offset:         40
        .size:           8
        .value_kind:     by_value
      - .offset:         48
        .size:           8
        .value_kind:     by_value
      - .offset:         56
        .size:           8
        .value_kind:     by_value
      - .offset:         64
        .size:           4
        .value_kind:     by_value
      - .offset:         68
        .size:           4
        .value_kind:     by_value
      - .offset:         72
        .size:           4
        .value_kind:     by_value
      - .offset:         80
        .size:           8
        .value_kind:     by_value
      - .offset:         88
        .size:           1
        .value_kind:     by_value
      - .offset:         96
        .size:           4
        .value_kind:     hidden_block_count_x
      - .offset:         100
        .size:           4
        .value_kind:     hidden_block_count_y
      - .offset:         104
        .size:           4
        .value_kind:     hidden_block_count_z
      - .offset:         108
        .size:           2
        .value_kind:     hidden_group_size_x
      - .offset:         110
        .size:           2
        .value_kind:     hidden_group_size_y
      - .offset:         112
        .size:           2
        .value_kind:     hidden_group_size_z
      - .offset:         114
        .size:           2
        .value_kind:     hidden_remainder_x
      - .offset:         116
        .size:           2
        .value_kind:     hidden_remainder_y
      - .offset:         118
        .size:           2
        .value_kind:     hidden_remainder_z
      - .offset:         136
        .size:           8
        .value_kind:     hidden_global_offset_x
      - .offset:         144
        .size:           8
        .value_kind:     hidden_global_offset_y
      - .offset:         152
        .size:           8
        .value_kind:     hidden_global_offset_z
      - .offset:         160
        .size:           2
        .value_kind:     hidden_grid_dims
    .group_segment_fixed_size: 0
    .kernarg_segment_align: 8
    .kernarg_segment_size: 352
    .language:       OpenCL C
    .language_version:
      - 2
      - 0
    .max_flat_workgroup_size: 1024
    .name:           _ZN4vllm23rotary_embedding_kernelIffLb1EEEvPKlPT_S4_PKT0_illliiilb
    .private_segment_fixed_size: 0
    .sgpr_count:     36
    .sgpr_spill_count: 0
    .symbol:         _ZN4vllm23rotary_embedding_kernelIffLb1EEEvPKlPT_S4_PKT0_illliiilb.kd
    .uniform_work_group_size: 1
    .uses_dynamic_stack: false
    .vgpr_count:     12
    .vgpr_spill_count: 0
    .wavefront_size: 32
  - .args:
      - .actual_access:  read_only
        .address_space:  global
        .offset:         0
        .size:           8
        .value_kind:     global_buffer
      - .address_space:  global
        .offset:         8
        .size:           8
        .value_kind:     global_buffer
      - .address_space:  global
        .offset:         16
        .size:           8
        .value_kind:     global_buffer
      - .actual_access:  read_only
        .address_space:  global
        .offset:         24
        .size:           8
        .value_kind:     global_buffer
      - .offset:         32
        .size:           4
        .value_kind:     by_value
      - .offset:         40
        .size:           8
        .value_kind:     by_value
      - .offset:         48
        .size:           8
        .value_kind:     by_value
      - .offset:         56
        .size:           8
        .value_kind:     by_value
      - .offset:         64
        .size:           4
        .value_kind:     by_value
      - .offset:         68
        .size:           4
        .value_kind:     by_value
      - .offset:         72
        .size:           4
        .value_kind:     by_value
      - .offset:         80
        .size:           8
        .value_kind:     by_value
      - .offset:         88
        .size:           1
        .value_kind:     by_value
      - .offset:         96
        .size:           4
        .value_kind:     hidden_block_count_x
      - .offset:         100
        .size:           4
        .value_kind:     hidden_block_count_y
      - .offset:         104
        .size:           4
        .value_kind:     hidden_block_count_z
      - .offset:         108
        .size:           2
        .value_kind:     hidden_group_size_x
      - .offset:         110
        .size:           2
        .value_kind:     hidden_group_size_y
      - .offset:         112
        .size:           2
        .value_kind:     hidden_group_size_z
      - .offset:         114
        .size:           2
        .value_kind:     hidden_remainder_x
      - .offset:         116
        .size:           2
        .value_kind:     hidden_remainder_y
      - .offset:         118
        .size:           2
        .value_kind:     hidden_remainder_z
      - .offset:         136
        .size:           8
        .value_kind:     hidden_global_offset_x
      - .offset:         144
        .size:           8
        .value_kind:     hidden_global_offset_y
      - .offset:         152
        .size:           8
        .value_kind:     hidden_global_offset_z
      - .offset:         160
        .size:           2
        .value_kind:     hidden_grid_dims
    .group_segment_fixed_size: 0
    .kernarg_segment_align: 8
    .kernarg_segment_size: 352
    .language:       OpenCL C
    .language_version:
      - 2
      - 0
    .max_flat_workgroup_size: 1024
    .name:           _ZN4vllm23rotary_embedding_kernelIffLb0EEEvPKlPT_S4_PKT0_illliiilb
    .private_segment_fixed_size: 0
    .sgpr_count:     36
    .sgpr_spill_count: 0
    .symbol:         _ZN4vllm23rotary_embedding_kernelIffLb0EEEvPKlPT_S4_PKT0_illliiilb.kd
    .uniform_work_group_size: 1
    .uses_dynamic_stack: false
    .vgpr_count:     14
    .vgpr_spill_count: 0
    .wavefront_size: 32
  - .args:
      - .actual_access:  read_only
        .address_space:  global
        .offset:         0
        .size:           8
        .value_kind:     global_buffer
      - .address_space:  global
        .offset:         8
        .size:           8
        .value_kind:     global_buffer
      - .address_space:  global
        .offset:         16
        .size:           8
        .value_kind:     global_buffer
      - .actual_access:  read_only
        .address_space:  global
        .offset:         24
        .size:           8
        .value_kind:     global_buffer
      - .offset:         32
        .size:           4
        .value_kind:     by_value
      - .offset:         40
        .size:           8
        .value_kind:     by_value
      - .offset:         48
        .size:           8
        .value_kind:     by_value
      - .offset:         56
        .size:           8
        .value_kind:     by_value
      - .offset:         64
        .size:           4
        .value_kind:     by_value
      - .offset:         68
        .size:           4
        .value_kind:     by_value
      - .offset:         72
        .size:           4
        .value_kind:     by_value
      - .offset:         80
        .size:           8
        .value_kind:     by_value
      - .offset:         88
        .size:           1
        .value_kind:     by_value
      - .offset:         96
        .size:           4
        .value_kind:     hidden_block_count_x
      - .offset:         100
        .size:           4
        .value_kind:     hidden_block_count_y
      - .offset:         104
        .size:           4
        .value_kind:     hidden_block_count_z
      - .offset:         108
        .size:           2
        .value_kind:     hidden_group_size_x
      - .offset:         110
        .size:           2
        .value_kind:     hidden_group_size_y
      - .offset:         112
        .size:           2
        .value_kind:     hidden_group_size_z
      - .offset:         114
        .size:           2
        .value_kind:     hidden_remainder_x
      - .offset:         116
        .size:           2
        .value_kind:     hidden_remainder_y
      - .offset:         118
        .size:           2
        .value_kind:     hidden_remainder_z
      - .offset:         136
        .size:           8
        .value_kind:     hidden_global_offset_x
      - .offset:         144
        .size:           8
        .value_kind:     hidden_global_offset_y
      - .offset:         152
        .size:           8
        .value_kind:     hidden_global_offset_z
      - .offset:         160
        .size:           2
        .value_kind:     hidden_grid_dims
    .group_segment_fixed_size: 0
    .kernarg_segment_align: 8
    .kernarg_segment_size: 352
    .language:       OpenCL C
    .language_version:
      - 2
      - 0
    .max_flat_workgroup_size: 1024
    .name:           _ZN4vllm23rotary_embedding_kernelIfN3c104HalfELb1EEEvPKlPT_S6_PKT0_illliiilb
    .private_segment_fixed_size: 0
    .sgpr_count:     36
    .sgpr_spill_count: 0
    .symbol:         _ZN4vllm23rotary_embedding_kernelIfN3c104HalfELb1EEEvPKlPT_S6_PKT0_illliiilb.kd
    .uniform_work_group_size: 1
    .uses_dynamic_stack: false
    .vgpr_count:     12
    .vgpr_spill_count: 0
    .wavefront_size: 32
  - .args:
      - .actual_access:  read_only
        .address_space:  global
        .offset:         0
        .size:           8
        .value_kind:     global_buffer
      - .address_space:  global
        .offset:         8
        .size:           8
        .value_kind:     global_buffer
      - .address_space:  global
        .offset:         16
        .size:           8
        .value_kind:     global_buffer
      - .actual_access:  read_only
        .address_space:  global
        .offset:         24
        .size:           8
        .value_kind:     global_buffer
      - .offset:         32
        .size:           4
        .value_kind:     by_value
      - .offset:         40
        .size:           8
        .value_kind:     by_value
      - .offset:         48
        .size:           8
        .value_kind:     by_value
      - .offset:         56
        .size:           8
        .value_kind:     by_value
      - .offset:         64
        .size:           4
        .value_kind:     by_value
      - .offset:         68
        .size:           4
        .value_kind:     by_value
      - .offset:         72
        .size:           4
        .value_kind:     by_value
      - .offset:         80
        .size:           8
        .value_kind:     by_value
      - .offset:         88
        .size:           1
        .value_kind:     by_value
      - .offset:         96
        .size:           4
        .value_kind:     hidden_block_count_x
      - .offset:         100
        .size:           4
        .value_kind:     hidden_block_count_y
      - .offset:         104
        .size:           4
        .value_kind:     hidden_block_count_z
      - .offset:         108
        .size:           2
        .value_kind:     hidden_group_size_x
      - .offset:         110
        .size:           2
        .value_kind:     hidden_group_size_y
      - .offset:         112
        .size:           2
        .value_kind:     hidden_group_size_z
      - .offset:         114
        .size:           2
        .value_kind:     hidden_remainder_x
      - .offset:         116
        .size:           2
        .value_kind:     hidden_remainder_y
      - .offset:         118
        .size:           2
        .value_kind:     hidden_remainder_z
      - .offset:         136
        .size:           8
        .value_kind:     hidden_global_offset_x
      - .offset:         144
        .size:           8
        .value_kind:     hidden_global_offset_y
      - .offset:         152
        .size:           8
        .value_kind:     hidden_global_offset_z
      - .offset:         160
        .size:           2
        .value_kind:     hidden_grid_dims
    .group_segment_fixed_size: 0
    .kernarg_segment_align: 8
    .kernarg_segment_size: 352
    .language:       OpenCL C
    .language_version:
      - 2
      - 0
    .max_flat_workgroup_size: 1024
    .name:           _ZN4vllm23rotary_embedding_kernelIfN3c104HalfELb0EEEvPKlPT_S6_PKT0_illliiilb
    .private_segment_fixed_size: 0
    .sgpr_count:     36
    .sgpr_spill_count: 0
    .symbol:         _ZN4vllm23rotary_embedding_kernelIfN3c104HalfELb0EEEvPKlPT_S6_PKT0_illliiilb.kd
    .uniform_work_group_size: 1
    .uses_dynamic_stack: false
    .vgpr_count:     16
    .vgpr_spill_count: 0
    .wavefront_size: 32
  - .args:
      - .actual_access:  read_only
        .address_space:  global
        .offset:         0
        .size:           8
        .value_kind:     global_buffer
      - .address_space:  global
        .offset:         8
        .size:           8
        .value_kind:     global_buffer
      - .address_space:  global
        .offset:         16
        .size:           8
        .value_kind:     global_buffer
      - .actual_access:  read_only
        .address_space:  global
        .offset:         24
        .size:           8
        .value_kind:     global_buffer
      - .offset:         32
        .size:           4
        .value_kind:     by_value
      - .offset:         40
        .size:           8
        .value_kind:     by_value
      - .offset:         48
        .size:           8
        .value_kind:     by_value
      - .offset:         56
        .size:           8
        .value_kind:     by_value
      - .offset:         64
        .size:           4
        .value_kind:     by_value
      - .offset:         68
        .size:           4
        .value_kind:     by_value
      - .offset:         72
        .size:           4
        .value_kind:     by_value
      - .offset:         80
        .size:           8
        .value_kind:     by_value
      - .offset:         88
        .size:           1
        .value_kind:     by_value
      - .offset:         96
        .size:           4
        .value_kind:     hidden_block_count_x
      - .offset:         100
        .size:           4
        .value_kind:     hidden_block_count_y
      - .offset:         104
        .size:           4
        .value_kind:     hidden_block_count_z
      - .offset:         108
        .size:           2
        .value_kind:     hidden_group_size_x
      - .offset:         110
        .size:           2
        .value_kind:     hidden_group_size_y
      - .offset:         112
        .size:           2
        .value_kind:     hidden_group_size_z
      - .offset:         114
        .size:           2
        .value_kind:     hidden_remainder_x
      - .offset:         116
        .size:           2
        .value_kind:     hidden_remainder_y
      - .offset:         118
        .size:           2
        .value_kind:     hidden_remainder_z
      - .offset:         136
        .size:           8
        .value_kind:     hidden_global_offset_x
      - .offset:         144
        .size:           8
        .value_kind:     hidden_global_offset_y
      - .offset:         152
        .size:           8
        .value_kind:     hidden_global_offset_z
      - .offset:         160
        .size:           2
        .value_kind:     hidden_grid_dims
    .group_segment_fixed_size: 0
    .kernarg_segment_align: 8
    .kernarg_segment_size: 352
    .language:       OpenCL C
    .language_version:
      - 2
      - 0
    .max_flat_workgroup_size: 1024
    .name:           _ZN4vllm23rotary_embedding_kernelIfN3c108BFloat16ELb1EEEvPKlPT_S6_PKT0_illliiilb
    .private_segment_fixed_size: 0
    .sgpr_count:     36
    .sgpr_spill_count: 0
    .symbol:         _ZN4vllm23rotary_embedding_kernelIfN3c108BFloat16ELb1EEEvPKlPT_S6_PKT0_illliiilb.kd
    .uniform_work_group_size: 1
    .uses_dynamic_stack: false
    .vgpr_count:     12
    .vgpr_spill_count: 0
    .wavefront_size: 32
  - .args:
      - .actual_access:  read_only
        .address_space:  global
        .offset:         0
        .size:           8
        .value_kind:     global_buffer
      - .address_space:  global
        .offset:         8
        .size:           8
        .value_kind:     global_buffer
      - .address_space:  global
        .offset:         16
        .size:           8
        .value_kind:     global_buffer
      - .actual_access:  read_only
        .address_space:  global
        .offset:         24
        .size:           8
        .value_kind:     global_buffer
      - .offset:         32
        .size:           4
        .value_kind:     by_value
      - .offset:         40
        .size:           8
        .value_kind:     by_value
      - .offset:         48
        .size:           8
        .value_kind:     by_value
      - .offset:         56
        .size:           8
        .value_kind:     by_value
      - .offset:         64
        .size:           4
        .value_kind:     by_value
      - .offset:         68
        .size:           4
        .value_kind:     by_value
      - .offset:         72
        .size:           4
        .value_kind:     by_value
      - .offset:         80
        .size:           8
        .value_kind:     by_value
      - .offset:         88
        .size:           1
        .value_kind:     by_value
      - .offset:         96
        .size:           4
        .value_kind:     hidden_block_count_x
      - .offset:         100
        .size:           4
        .value_kind:     hidden_block_count_y
      - .offset:         104
        .size:           4
        .value_kind:     hidden_block_count_z
      - .offset:         108
        .size:           2
        .value_kind:     hidden_group_size_x
      - .offset:         110
        .size:           2
        .value_kind:     hidden_group_size_y
      - .offset:         112
        .size:           2
        .value_kind:     hidden_group_size_z
      - .offset:         114
        .size:           2
        .value_kind:     hidden_remainder_x
      - .offset:         116
        .size:           2
        .value_kind:     hidden_remainder_y
      - .offset:         118
        .size:           2
        .value_kind:     hidden_remainder_z
      - .offset:         136
        .size:           8
        .value_kind:     hidden_global_offset_x
      - .offset:         144
        .size:           8
        .value_kind:     hidden_global_offset_y
      - .offset:         152
        .size:           8
        .value_kind:     hidden_global_offset_z
      - .offset:         160
        .size:           2
        .value_kind:     hidden_grid_dims
    .group_segment_fixed_size: 0
    .kernarg_segment_align: 8
    .kernarg_segment_size: 352
    .language:       OpenCL C
    .language_version:
      - 2
      - 0
    .max_flat_workgroup_size: 1024
    .name:           _ZN4vllm23rotary_embedding_kernelIfN3c108BFloat16ELb0EEEvPKlPT_S6_PKT0_illliiilb
    .private_segment_fixed_size: 0
    .sgpr_count:     36
    .sgpr_spill_count: 0
    .symbol:         _ZN4vllm23rotary_embedding_kernelIfN3c108BFloat16ELb0EEEvPKlPT_S6_PKT0_illliiilb.kd
    .uniform_work_group_size: 1
    .uses_dynamic_stack: false
    .vgpr_count:     16
    .vgpr_spill_count: 0
    .wavefront_size: 32
  - .args:
      - .actual_access:  read_only
        .address_space:  global
        .offset:         0
        .size:           8
        .value_kind:     global_buffer
      - .address_space:  global
        .offset:         8
        .size:           8
        .value_kind:     global_buffer
      - .address_space:  global
        .offset:         16
        .size:           8
        .value_kind:     global_buffer
      - .actual_access:  read_only
        .address_space:  global
        .offset:         24
        .size:           8
        .value_kind:     global_buffer
      - .offset:         32
        .size:           4
        .value_kind:     by_value
      - .offset:         40
        .size:           8
        .value_kind:     by_value
      - .offset:         48
        .size:           8
        .value_kind:     by_value
      - .offset:         56
        .size:           8
        .value_kind:     by_value
      - .offset:         64
        .size:           4
        .value_kind:     by_value
      - .offset:         68
        .size:           4
        .value_kind:     by_value
      - .offset:         72
        .size:           4
        .value_kind:     by_value
      - .offset:         80
        .size:           8
        .value_kind:     by_value
      - .offset:         88
        .size:           1
        .value_kind:     by_value
      - .offset:         96
        .size:           4
        .value_kind:     hidden_block_count_x
      - .offset:         100
        .size:           4
        .value_kind:     hidden_block_count_y
      - .offset:         104
        .size:           4
        .value_kind:     hidden_block_count_z
      - .offset:         108
        .size:           2
        .value_kind:     hidden_group_size_x
      - .offset:         110
        .size:           2
        .value_kind:     hidden_group_size_y
      - .offset:         112
        .size:           2
        .value_kind:     hidden_group_size_z
      - .offset:         114
        .size:           2
        .value_kind:     hidden_remainder_x
      - .offset:         116
        .size:           2
        .value_kind:     hidden_remainder_y
      - .offset:         118
        .size:           2
        .value_kind:     hidden_remainder_z
      - .offset:         136
        .size:           8
        .value_kind:     hidden_global_offset_x
      - .offset:         144
        .size:           8
        .value_kind:     hidden_global_offset_y
      - .offset:         152
        .size:           8
        .value_kind:     hidden_global_offset_z
      - .offset:         160
        .size:           2
        .value_kind:     hidden_grid_dims
    .group_segment_fixed_size: 0
    .kernarg_segment_align: 8
    .kernarg_segment_size: 352
    .language:       OpenCL C
    .language_version:
      - 2
      - 0
    .max_flat_workgroup_size: 1024
    .name:           _ZN4vllm23rotary_embedding_kernelIN3c104HalfEfLb1EEEvPKlPT_S6_PKT0_illliiilb
    .private_segment_fixed_size: 0
    .sgpr_count:     36
    .sgpr_spill_count: 0
    .symbol:         _ZN4vllm23rotary_embedding_kernelIN3c104HalfEfLb1EEEvPKlPT_S6_PKT0_illliiilb.kd
    .uniform_work_group_size: 1
    .uses_dynamic_stack: false
    .vgpr_count:     12
    .vgpr_spill_count: 0
    .wavefront_size: 32
  - .args:
      - .actual_access:  read_only
        .address_space:  global
        .offset:         0
        .size:           8
        .value_kind:     global_buffer
      - .address_space:  global
        .offset:         8
        .size:           8
        .value_kind:     global_buffer
      - .address_space:  global
        .offset:         16
        .size:           8
        .value_kind:     global_buffer
      - .actual_access:  read_only
        .address_space:  global
        .offset:         24
        .size:           8
        .value_kind:     global_buffer
      - .offset:         32
        .size:           4
        .value_kind:     by_value
      - .offset:         40
        .size:           8
        .value_kind:     by_value
      - .offset:         48
        .size:           8
        .value_kind:     by_value
      - .offset:         56
        .size:           8
        .value_kind:     by_value
      - .offset:         64
        .size:           4
        .value_kind:     by_value
      - .offset:         68
        .size:           4
        .value_kind:     by_value
      - .offset:         72
        .size:           4
        .value_kind:     by_value
      - .offset:         80
        .size:           8
        .value_kind:     by_value
      - .offset:         88
        .size:           1
        .value_kind:     by_value
      - .offset:         96
        .size:           4
        .value_kind:     hidden_block_count_x
      - .offset:         100
        .size:           4
        .value_kind:     hidden_block_count_y
      - .offset:         104
        .size:           4
        .value_kind:     hidden_block_count_z
      - .offset:         108
        .size:           2
        .value_kind:     hidden_group_size_x
      - .offset:         110
        .size:           2
        .value_kind:     hidden_group_size_y
      - .offset:         112
        .size:           2
        .value_kind:     hidden_group_size_z
      - .offset:         114
        .size:           2
        .value_kind:     hidden_remainder_x
      - .offset:         116
        .size:           2
        .value_kind:     hidden_remainder_y
      - .offset:         118
        .size:           2
        .value_kind:     hidden_remainder_z
      - .offset:         136
        .size:           8
        .value_kind:     hidden_global_offset_x
      - .offset:         144
        .size:           8
        .value_kind:     hidden_global_offset_y
      - .offset:         152
        .size:           8
        .value_kind:     hidden_global_offset_z
      - .offset:         160
        .size:           2
        .value_kind:     hidden_grid_dims
    .group_segment_fixed_size: 0
    .kernarg_segment_align: 8
    .kernarg_segment_size: 352
    .language:       OpenCL C
    .language_version:
      - 2
      - 0
    .max_flat_workgroup_size: 1024
    .name:           _ZN4vllm23rotary_embedding_kernelIN3c104HalfEfLb0EEEvPKlPT_S6_PKT0_illliiilb
    .private_segment_fixed_size: 0
    .sgpr_count:     36
    .sgpr_spill_count: 0
    .symbol:         _ZN4vllm23rotary_embedding_kernelIN3c104HalfEfLb0EEEvPKlPT_S6_PKT0_illliiilb.kd
    .uniform_work_group_size: 1
    .uses_dynamic_stack: false
    .vgpr_count:     14
    .vgpr_spill_count: 0
    .wavefront_size: 32
  - .args:
      - .actual_access:  read_only
        .address_space:  global
        .offset:         0
        .size:           8
        .value_kind:     global_buffer
      - .address_space:  global
        .offset:         8
        .size:           8
        .value_kind:     global_buffer
      - .address_space:  global
        .offset:         16
        .size:           8
        .value_kind:     global_buffer
      - .actual_access:  read_only
        .address_space:  global
        .offset:         24
        .size:           8
        .value_kind:     global_buffer
      - .offset:         32
        .size:           4
        .value_kind:     by_value
      - .offset:         40
        .size:           8
        .value_kind:     by_value
      - .offset:         48
        .size:           8
        .value_kind:     by_value
      - .offset:         56
        .size:           8
        .value_kind:     by_value
      - .offset:         64
        .size:           4
        .value_kind:     by_value
      - .offset:         68
        .size:           4
        .value_kind:     by_value
      - .offset:         72
        .size:           4
        .value_kind:     by_value
      - .offset:         80
        .size:           8
        .value_kind:     by_value
      - .offset:         88
        .size:           1
        .value_kind:     by_value
      - .offset:         96
        .size:           4
        .value_kind:     hidden_block_count_x
      - .offset:         100
        .size:           4
        .value_kind:     hidden_block_count_y
      - .offset:         104
        .size:           4
        .value_kind:     hidden_block_count_z
      - .offset:         108
        .size:           2
        .value_kind:     hidden_group_size_x
      - .offset:         110
        .size:           2
        .value_kind:     hidden_group_size_y
      - .offset:         112
        .size:           2
        .value_kind:     hidden_group_size_z
      - .offset:         114
        .size:           2
        .value_kind:     hidden_remainder_x
      - .offset:         116
        .size:           2
        .value_kind:     hidden_remainder_y
      - .offset:         118
        .size:           2
        .value_kind:     hidden_remainder_z
      - .offset:         136
        .size:           8
        .value_kind:     hidden_global_offset_x
      - .offset:         144
        .size:           8
        .value_kind:     hidden_global_offset_y
      - .offset:         152
        .size:           8
        .value_kind:     hidden_global_offset_z
      - .offset:         160
        .size:           2
        .value_kind:     hidden_grid_dims
    .group_segment_fixed_size: 0
    .kernarg_segment_align: 8
    .kernarg_segment_size: 352
    .language:       OpenCL C
    .language_version:
      - 2
      - 0
    .max_flat_workgroup_size: 1024
    .name:           _ZN4vllm23rotary_embedding_kernelIN3c104HalfES2_Lb1EEEvPKlPT_S6_PKT0_illliiilb
    .private_segment_fixed_size: 0
    .sgpr_count:     36
    .sgpr_spill_count: 0
    .symbol:         _ZN4vllm23rotary_embedding_kernelIN3c104HalfES2_Lb1EEEvPKlPT_S6_PKT0_illliiilb.kd
    .uniform_work_group_size: 1
    .uses_dynamic_stack: false
    .vgpr_count:     13
    .vgpr_spill_count: 0
    .wavefront_size: 32
  - .args:
      - .actual_access:  read_only
        .address_space:  global
        .offset:         0
        .size:           8
        .value_kind:     global_buffer
      - .address_space:  global
        .offset:         8
        .size:           8
        .value_kind:     global_buffer
      - .address_space:  global
        .offset:         16
        .size:           8
        .value_kind:     global_buffer
      - .actual_access:  read_only
        .address_space:  global
        .offset:         24
        .size:           8
        .value_kind:     global_buffer
      - .offset:         32
        .size:           4
        .value_kind:     by_value
      - .offset:         40
        .size:           8
        .value_kind:     by_value
      - .offset:         48
        .size:           8
        .value_kind:     by_value
      - .offset:         56
        .size:           8
        .value_kind:     by_value
      - .offset:         64
        .size:           4
        .value_kind:     by_value
      - .offset:         68
        .size:           4
        .value_kind:     by_value
      - .offset:         72
        .size:           4
        .value_kind:     by_value
      - .offset:         80
        .size:           8
        .value_kind:     by_value
      - .offset:         88
        .size:           1
        .value_kind:     by_value
      - .offset:         96
        .size:           4
        .value_kind:     hidden_block_count_x
      - .offset:         100
        .size:           4
        .value_kind:     hidden_block_count_y
      - .offset:         104
        .size:           4
        .value_kind:     hidden_block_count_z
      - .offset:         108
        .size:           2
        .value_kind:     hidden_group_size_x
      - .offset:         110
        .size:           2
        .value_kind:     hidden_group_size_y
      - .offset:         112
        .size:           2
        .value_kind:     hidden_group_size_z
      - .offset:         114
        .size:           2
        .value_kind:     hidden_remainder_x
      - .offset:         116
        .size:           2
        .value_kind:     hidden_remainder_y
      - .offset:         118
        .size:           2
        .value_kind:     hidden_remainder_z
      - .offset:         136
        .size:           8
        .value_kind:     hidden_global_offset_x
      - .offset:         144
        .size:           8
        .value_kind:     hidden_global_offset_y
      - .offset:         152
        .size:           8
        .value_kind:     hidden_global_offset_z
      - .offset:         160
        .size:           2
        .value_kind:     hidden_grid_dims
    .group_segment_fixed_size: 0
    .kernarg_segment_align: 8
    .kernarg_segment_size: 352
    .language:       OpenCL C
    .language_version:
      - 2
      - 0
    .max_flat_workgroup_size: 1024
    .name:           _ZN4vllm23rotary_embedding_kernelIN3c104HalfES2_Lb0EEEvPKlPT_S6_PKT0_illliiilb
    .private_segment_fixed_size: 0
    .sgpr_count:     36
    .sgpr_spill_count: 0
    .symbol:         _ZN4vllm23rotary_embedding_kernelIN3c104HalfES2_Lb0EEEvPKlPT_S6_PKT0_illliiilb.kd
    .uniform_work_group_size: 1
    .uses_dynamic_stack: false
    .vgpr_count:     16
    .vgpr_spill_count: 0
    .wavefront_size: 32
  - .args:
      - .actual_access:  read_only
        .address_space:  global
        .offset:         0
        .size:           8
        .value_kind:     global_buffer
      - .address_space:  global
        .offset:         8
        .size:           8
        .value_kind:     global_buffer
      - .address_space:  global
        .offset:         16
        .size:           8
        .value_kind:     global_buffer
      - .actual_access:  read_only
        .address_space:  global
        .offset:         24
        .size:           8
        .value_kind:     global_buffer
      - .offset:         32
        .size:           4
        .value_kind:     by_value
      - .offset:         40
        .size:           8
        .value_kind:     by_value
      - .offset:         48
        .size:           8
        .value_kind:     by_value
      - .offset:         56
        .size:           8
        .value_kind:     by_value
      - .offset:         64
        .size:           4
        .value_kind:     by_value
      - .offset:         68
        .size:           4
        .value_kind:     by_value
      - .offset:         72
        .size:           4
        .value_kind:     by_value
      - .offset:         80
        .size:           8
        .value_kind:     by_value
      - .offset:         88
        .size:           1
        .value_kind:     by_value
      - .offset:         96
        .size:           4
        .value_kind:     hidden_block_count_x
      - .offset:         100
        .size:           4
        .value_kind:     hidden_block_count_y
      - .offset:         104
        .size:           4
        .value_kind:     hidden_block_count_z
      - .offset:         108
        .size:           2
        .value_kind:     hidden_group_size_x
      - .offset:         110
        .size:           2
        .value_kind:     hidden_group_size_y
      - .offset:         112
        .size:           2
        .value_kind:     hidden_group_size_z
      - .offset:         114
        .size:           2
        .value_kind:     hidden_remainder_x
      - .offset:         116
        .size:           2
        .value_kind:     hidden_remainder_y
      - .offset:         118
        .size:           2
        .value_kind:     hidden_remainder_z
      - .offset:         136
        .size:           8
        .value_kind:     hidden_global_offset_x
      - .offset:         144
        .size:           8
        .value_kind:     hidden_global_offset_y
      - .offset:         152
        .size:           8
        .value_kind:     hidden_global_offset_z
      - .offset:         160
        .size:           2
        .value_kind:     hidden_grid_dims
    .group_segment_fixed_size: 0
    .kernarg_segment_align: 8
    .kernarg_segment_size: 352
    .language:       OpenCL C
    .language_version:
      - 2
      - 0
    .max_flat_workgroup_size: 1024
    .name:           _ZN4vllm23rotary_embedding_kernelIN3c104HalfENS1_8BFloat16ELb1EEEvPKlPT_S7_PKT0_illliiilb
    .private_segment_fixed_size: 0
    .sgpr_count:     36
    .sgpr_spill_count: 0
    .symbol:         _ZN4vllm23rotary_embedding_kernelIN3c104HalfENS1_8BFloat16ELb1EEEvPKlPT_S7_PKT0_illliiilb.kd
    .uniform_work_group_size: 1
    .uses_dynamic_stack: false
    .vgpr_count:     13
    .vgpr_spill_count: 0
    .wavefront_size: 32
  - .args:
      - .actual_access:  read_only
        .address_space:  global
        .offset:         0
        .size:           8
        .value_kind:     global_buffer
      - .address_space:  global
        .offset:         8
        .size:           8
        .value_kind:     global_buffer
      - .address_space:  global
        .offset:         16
        .size:           8
        .value_kind:     global_buffer
      - .actual_access:  read_only
        .address_space:  global
        .offset:         24
        .size:           8
        .value_kind:     global_buffer
      - .offset:         32
        .size:           4
        .value_kind:     by_value
      - .offset:         40
        .size:           8
        .value_kind:     by_value
      - .offset:         48
        .size:           8
        .value_kind:     by_value
      - .offset:         56
        .size:           8
        .value_kind:     by_value
      - .offset:         64
        .size:           4
        .value_kind:     by_value
      - .offset:         68
        .size:           4
        .value_kind:     by_value
      - .offset:         72
        .size:           4
        .value_kind:     by_value
      - .offset:         80
        .size:           8
        .value_kind:     by_value
      - .offset:         88
        .size:           1
        .value_kind:     by_value
      - .offset:         96
        .size:           4
        .value_kind:     hidden_block_count_x
      - .offset:         100
        .size:           4
        .value_kind:     hidden_block_count_y
      - .offset:         104
        .size:           4
        .value_kind:     hidden_block_count_z
      - .offset:         108
        .size:           2
        .value_kind:     hidden_group_size_x
      - .offset:         110
        .size:           2
        .value_kind:     hidden_group_size_y
      - .offset:         112
        .size:           2
        .value_kind:     hidden_group_size_z
      - .offset:         114
        .size:           2
        .value_kind:     hidden_remainder_x
      - .offset:         116
        .size:           2
        .value_kind:     hidden_remainder_y
      - .offset:         118
        .size:           2
        .value_kind:     hidden_remainder_z
      - .offset:         136
        .size:           8
        .value_kind:     hidden_global_offset_x
      - .offset:         144
        .size:           8
        .value_kind:     hidden_global_offset_y
      - .offset:         152
        .size:           8
        .value_kind:     hidden_global_offset_z
      - .offset:         160
        .size:           2
        .value_kind:     hidden_grid_dims
    .group_segment_fixed_size: 0
    .kernarg_segment_align: 8
    .kernarg_segment_size: 352
    .language:       OpenCL C
    .language_version:
      - 2
      - 0
    .max_flat_workgroup_size: 1024
    .name:           _ZN4vllm23rotary_embedding_kernelIN3c104HalfENS1_8BFloat16ELb0EEEvPKlPT_S7_PKT0_illliiilb
    .private_segment_fixed_size: 0
    .sgpr_count:     36
    .sgpr_spill_count: 0
    .symbol:         _ZN4vllm23rotary_embedding_kernelIN3c104HalfENS1_8BFloat16ELb0EEEvPKlPT_S7_PKT0_illliiilb.kd
    .uniform_work_group_size: 1
    .uses_dynamic_stack: false
    .vgpr_count:     16
    .vgpr_spill_count: 0
    .wavefront_size: 32
  - .args:
      - .actual_access:  read_only
        .address_space:  global
        .offset:         0
        .size:           8
        .value_kind:     global_buffer
      - .address_space:  global
        .offset:         8
        .size:           8
        .value_kind:     global_buffer
      - .address_space:  global
        .offset:         16
        .size:           8
        .value_kind:     global_buffer
      - .actual_access:  read_only
        .address_space:  global
        .offset:         24
        .size:           8
        .value_kind:     global_buffer
      - .offset:         32
        .size:           4
        .value_kind:     by_value
      - .offset:         40
        .size:           8
        .value_kind:     by_value
      - .offset:         48
        .size:           8
        .value_kind:     by_value
      - .offset:         56
        .size:           8
        .value_kind:     by_value
      - .offset:         64
        .size:           4
        .value_kind:     by_value
      - .offset:         68
        .size:           4
        .value_kind:     by_value
      - .offset:         72
        .size:           4
        .value_kind:     by_value
      - .offset:         80
        .size:           8
        .value_kind:     by_value
      - .offset:         88
        .size:           1
        .value_kind:     by_value
      - .offset:         96
        .size:           4
        .value_kind:     hidden_block_count_x
      - .offset:         100
        .size:           4
        .value_kind:     hidden_block_count_y
      - .offset:         104
        .size:           4
        .value_kind:     hidden_block_count_z
      - .offset:         108
        .size:           2
        .value_kind:     hidden_group_size_x
      - .offset:         110
        .size:           2
        .value_kind:     hidden_group_size_y
      - .offset:         112
        .size:           2
        .value_kind:     hidden_group_size_z
      - .offset:         114
        .size:           2
        .value_kind:     hidden_remainder_x
      - .offset:         116
        .size:           2
        .value_kind:     hidden_remainder_y
      - .offset:         118
        .size:           2
        .value_kind:     hidden_remainder_z
      - .offset:         136
        .size:           8
        .value_kind:     hidden_global_offset_x
      - .offset:         144
        .size:           8
        .value_kind:     hidden_global_offset_y
      - .offset:         152
        .size:           8
        .value_kind:     hidden_global_offset_z
      - .offset:         160
        .size:           2
        .value_kind:     hidden_grid_dims
    .group_segment_fixed_size: 0
    .kernarg_segment_align: 8
    .kernarg_segment_size: 352
    .language:       OpenCL C
    .language_version:
      - 2
      - 0
    .max_flat_workgroup_size: 1024
    .name:           _ZN4vllm23rotary_embedding_kernelIN3c108BFloat16EfLb1EEEvPKlPT_S6_PKT0_illliiilb
    .private_segment_fixed_size: 0
    .sgpr_count:     36
    .sgpr_spill_count: 0
    .symbol:         _ZN4vllm23rotary_embedding_kernelIN3c108BFloat16EfLb1EEEvPKlPT_S6_PKT0_illliiilb.kd
    .uniform_work_group_size: 1
    .uses_dynamic_stack: false
    .vgpr_count:     14
    .vgpr_spill_count: 0
    .wavefront_size: 32
  - .args:
      - .actual_access:  read_only
        .address_space:  global
        .offset:         0
        .size:           8
        .value_kind:     global_buffer
      - .address_space:  global
        .offset:         8
        .size:           8
        .value_kind:     global_buffer
      - .address_space:  global
        .offset:         16
        .size:           8
        .value_kind:     global_buffer
      - .actual_access:  read_only
        .address_space:  global
        .offset:         24
        .size:           8
        .value_kind:     global_buffer
      - .offset:         32
        .size:           4
        .value_kind:     by_value
      - .offset:         40
        .size:           8
        .value_kind:     by_value
      - .offset:         48
        .size:           8
        .value_kind:     by_value
      - .offset:         56
        .size:           8
        .value_kind:     by_value
      - .offset:         64
        .size:           4
        .value_kind:     by_value
      - .offset:         68
        .size:           4
        .value_kind:     by_value
      - .offset:         72
        .size:           4
        .value_kind:     by_value
      - .offset:         80
        .size:           8
        .value_kind:     by_value
      - .offset:         88
        .size:           1
        .value_kind:     by_value
      - .offset:         96
        .size:           4
        .value_kind:     hidden_block_count_x
      - .offset:         100
        .size:           4
        .value_kind:     hidden_block_count_y
      - .offset:         104
        .size:           4
        .value_kind:     hidden_block_count_z
      - .offset:         108
        .size:           2
        .value_kind:     hidden_group_size_x
      - .offset:         110
        .size:           2
        .value_kind:     hidden_group_size_y
      - .offset:         112
        .size:           2
        .value_kind:     hidden_group_size_z
      - .offset:         114
        .size:           2
        .value_kind:     hidden_remainder_x
      - .offset:         116
        .size:           2
        .value_kind:     hidden_remainder_y
      - .offset:         118
        .size:           2
        .value_kind:     hidden_remainder_z
      - .offset:         136
        .size:           8
        .value_kind:     hidden_global_offset_x
      - .offset:         144
        .size:           8
        .value_kind:     hidden_global_offset_y
      - .offset:         152
        .size:           8
        .value_kind:     hidden_global_offset_z
      - .offset:         160
        .size:           2
        .value_kind:     hidden_grid_dims
    .group_segment_fixed_size: 0
    .kernarg_segment_align: 8
    .kernarg_segment_size: 352
    .language:       OpenCL C
    .language_version:
      - 2
      - 0
    .max_flat_workgroup_size: 1024
    .name:           _ZN4vllm23rotary_embedding_kernelIN3c108BFloat16EfLb0EEEvPKlPT_S6_PKT0_illliiilb
    .private_segment_fixed_size: 0
    .sgpr_count:     36
    .sgpr_spill_count: 0
    .symbol:         _ZN4vllm23rotary_embedding_kernelIN3c108BFloat16EfLb0EEEvPKlPT_S6_PKT0_illliiilb.kd
    .uniform_work_group_size: 1
    .uses_dynamic_stack: false
    .vgpr_count:     14
    .vgpr_spill_count: 0
    .wavefront_size: 32
  - .args:
      - .actual_access:  read_only
        .address_space:  global
        .offset:         0
        .size:           8
        .value_kind:     global_buffer
      - .address_space:  global
        .offset:         8
        .size:           8
        .value_kind:     global_buffer
      - .address_space:  global
        .offset:         16
        .size:           8
        .value_kind:     global_buffer
      - .actual_access:  read_only
        .address_space:  global
        .offset:         24
        .size:           8
        .value_kind:     global_buffer
      - .offset:         32
        .size:           4
        .value_kind:     by_value
      - .offset:         40
        .size:           8
        .value_kind:     by_value
      - .offset:         48
        .size:           8
        .value_kind:     by_value
      - .offset:         56
        .size:           8
        .value_kind:     by_value
      - .offset:         64
        .size:           4
        .value_kind:     by_value
      - .offset:         68
        .size:           4
        .value_kind:     by_value
      - .offset:         72
        .size:           4
        .value_kind:     by_value
      - .offset:         80
        .size:           8
        .value_kind:     by_value
      - .offset:         88
        .size:           1
        .value_kind:     by_value
      - .offset:         96
        .size:           4
        .value_kind:     hidden_block_count_x
      - .offset:         100
        .size:           4
        .value_kind:     hidden_block_count_y
      - .offset:         104
        .size:           4
        .value_kind:     hidden_block_count_z
      - .offset:         108
        .size:           2
        .value_kind:     hidden_group_size_x
      - .offset:         110
        .size:           2
        .value_kind:     hidden_group_size_y
      - .offset:         112
        .size:           2
        .value_kind:     hidden_group_size_z
      - .offset:         114
        .size:           2
        .value_kind:     hidden_remainder_x
      - .offset:         116
        .size:           2
        .value_kind:     hidden_remainder_y
      - .offset:         118
        .size:           2
        .value_kind:     hidden_remainder_z
      - .offset:         136
        .size:           8
        .value_kind:     hidden_global_offset_x
      - .offset:         144
        .size:           8
        .value_kind:     hidden_global_offset_y
      - .offset:         152
        .size:           8
        .value_kind:     hidden_global_offset_z
      - .offset:         160
        .size:           2
        .value_kind:     hidden_grid_dims
    .group_segment_fixed_size: 0
    .kernarg_segment_align: 8
    .kernarg_segment_size: 352
    .language:       OpenCL C
    .language_version:
      - 2
      - 0
    .max_flat_workgroup_size: 1024
    .name:           _ZN4vllm23rotary_embedding_kernelIN3c108BFloat16ENS1_4HalfELb1EEEvPKlPT_S7_PKT0_illliiilb
    .private_segment_fixed_size: 0
    .sgpr_count:     36
    .sgpr_spill_count: 0
    .symbol:         _ZN4vllm23rotary_embedding_kernelIN3c108BFloat16ENS1_4HalfELb1EEEvPKlPT_S7_PKT0_illliiilb.kd
    .uniform_work_group_size: 1
    .uses_dynamic_stack: false
    .vgpr_count:     14
    .vgpr_spill_count: 0
    .wavefront_size: 32
  - .args:
      - .actual_access:  read_only
        .address_space:  global
        .offset:         0
        .size:           8
        .value_kind:     global_buffer
      - .address_space:  global
        .offset:         8
        .size:           8
        .value_kind:     global_buffer
      - .address_space:  global
        .offset:         16
        .size:           8
        .value_kind:     global_buffer
      - .actual_access:  read_only
        .address_space:  global
        .offset:         24
        .size:           8
        .value_kind:     global_buffer
      - .offset:         32
        .size:           4
        .value_kind:     by_value
      - .offset:         40
        .size:           8
        .value_kind:     by_value
      - .offset:         48
        .size:           8
        .value_kind:     by_value
      - .offset:         56
        .size:           8
        .value_kind:     by_value
      - .offset:         64
        .size:           4
        .value_kind:     by_value
      - .offset:         68
        .size:           4
        .value_kind:     by_value
      - .offset:         72
        .size:           4
        .value_kind:     by_value
      - .offset:         80
        .size:           8
        .value_kind:     by_value
      - .offset:         88
        .size:           1
        .value_kind:     by_value
      - .offset:         96
        .size:           4
        .value_kind:     hidden_block_count_x
      - .offset:         100
        .size:           4
        .value_kind:     hidden_block_count_y
      - .offset:         104
        .size:           4
        .value_kind:     hidden_block_count_z
      - .offset:         108
        .size:           2
        .value_kind:     hidden_group_size_x
      - .offset:         110
        .size:           2
        .value_kind:     hidden_group_size_y
      - .offset:         112
        .size:           2
        .value_kind:     hidden_group_size_z
      - .offset:         114
        .size:           2
        .value_kind:     hidden_remainder_x
      - .offset:         116
        .size:           2
        .value_kind:     hidden_remainder_y
      - .offset:         118
        .size:           2
        .value_kind:     hidden_remainder_z
      - .offset:         136
        .size:           8
        .value_kind:     hidden_global_offset_x
      - .offset:         144
        .size:           8
        .value_kind:     hidden_global_offset_y
      - .offset:         152
        .size:           8
        .value_kind:     hidden_global_offset_z
      - .offset:         160
        .size:           2
        .value_kind:     hidden_grid_dims
    .group_segment_fixed_size: 0
    .kernarg_segment_align: 8
    .kernarg_segment_size: 352
    .language:       OpenCL C
    .language_version:
      - 2
      - 0
    .max_flat_workgroup_size: 1024
    .name:           _ZN4vllm23rotary_embedding_kernelIN3c108BFloat16ENS1_4HalfELb0EEEvPKlPT_S7_PKT0_illliiilb
    .private_segment_fixed_size: 0
    .sgpr_count:     36
    .sgpr_spill_count: 0
    .symbol:         _ZN4vllm23rotary_embedding_kernelIN3c108BFloat16ENS1_4HalfELb0EEEvPKlPT_S7_PKT0_illliiilb.kd
    .uniform_work_group_size: 1
    .uses_dynamic_stack: false
    .vgpr_count:     16
    .vgpr_spill_count: 0
    .wavefront_size: 32
  - .args:
      - .actual_access:  read_only
        .address_space:  global
        .offset:         0
        .size:           8
        .value_kind:     global_buffer
      - .address_space:  global
        .offset:         8
        .size:           8
        .value_kind:     global_buffer
      - .address_space:  global
        .offset:         16
        .size:           8
        .value_kind:     global_buffer
      - .actual_access:  read_only
        .address_space:  global
        .offset:         24
        .size:           8
        .value_kind:     global_buffer
      - .offset:         32
        .size:           4
        .value_kind:     by_value
      - .offset:         40
        .size:           8
        .value_kind:     by_value
      - .offset:         48
        .size:           8
        .value_kind:     by_value
      - .offset:         56
        .size:           8
        .value_kind:     by_value
      - .offset:         64
        .size:           4
        .value_kind:     by_value
      - .offset:         68
        .size:           4
        .value_kind:     by_value
      - .offset:         72
        .size:           4
        .value_kind:     by_value
      - .offset:         80
        .size:           8
        .value_kind:     by_value
      - .offset:         88
        .size:           1
        .value_kind:     by_value
      - .offset:         96
        .size:           4
        .value_kind:     hidden_block_count_x
      - .offset:         100
        .size:           4
        .value_kind:     hidden_block_count_y
      - .offset:         104
        .size:           4
        .value_kind:     hidden_block_count_z
      - .offset:         108
        .size:           2
        .value_kind:     hidden_group_size_x
      - .offset:         110
        .size:           2
        .value_kind:     hidden_group_size_y
      - .offset:         112
        .size:           2
        .value_kind:     hidden_group_size_z
      - .offset:         114
        .size:           2
        .value_kind:     hidden_remainder_x
      - .offset:         116
        .size:           2
        .value_kind:     hidden_remainder_y
      - .offset:         118
        .size:           2
        .value_kind:     hidden_remainder_z
      - .offset:         136
        .size:           8
        .value_kind:     hidden_global_offset_x
      - .offset:         144
        .size:           8
        .value_kind:     hidden_global_offset_y
      - .offset:         152
        .size:           8
        .value_kind:     hidden_global_offset_z
      - .offset:         160
        .size:           2
        .value_kind:     hidden_grid_dims
    .group_segment_fixed_size: 0
    .kernarg_segment_align: 8
    .kernarg_segment_size: 352
    .language:       OpenCL C
    .language_version:
      - 2
      - 0
    .max_flat_workgroup_size: 1024
    .name:           _ZN4vllm23rotary_embedding_kernelIN3c108BFloat16ES2_Lb1EEEvPKlPT_S6_PKT0_illliiilb
    .private_segment_fixed_size: 0
    .sgpr_count:     36
    .sgpr_spill_count: 0
    .symbol:         _ZN4vllm23rotary_embedding_kernelIN3c108BFloat16ES2_Lb1EEEvPKlPT_S6_PKT0_illliiilb.kd
    .uniform_work_group_size: 1
    .uses_dynamic_stack: false
    .vgpr_count:     14
    .vgpr_spill_count: 0
    .wavefront_size: 32
  - .args:
      - .actual_access:  read_only
        .address_space:  global
        .offset:         0
        .size:           8
        .value_kind:     global_buffer
      - .address_space:  global
        .offset:         8
        .size:           8
        .value_kind:     global_buffer
      - .address_space:  global
        .offset:         16
        .size:           8
        .value_kind:     global_buffer
      - .actual_access:  read_only
        .address_space:  global
        .offset:         24
        .size:           8
        .value_kind:     global_buffer
      - .offset:         32
        .size:           4
        .value_kind:     by_value
      - .offset:         40
        .size:           8
        .value_kind:     by_value
      - .offset:         48
        .size:           8
        .value_kind:     by_value
      - .offset:         56
        .size:           8
        .value_kind:     by_value
      - .offset:         64
        .size:           4
        .value_kind:     by_value
      - .offset:         68
        .size:           4
        .value_kind:     by_value
      - .offset:         72
        .size:           4
        .value_kind:     by_value
      - .offset:         80
        .size:           8
        .value_kind:     by_value
      - .offset:         88
        .size:           1
        .value_kind:     by_value
      - .offset:         96
        .size:           4
        .value_kind:     hidden_block_count_x
      - .offset:         100
        .size:           4
        .value_kind:     hidden_block_count_y
      - .offset:         104
        .size:           4
        .value_kind:     hidden_block_count_z
      - .offset:         108
        .size:           2
        .value_kind:     hidden_group_size_x
      - .offset:         110
        .size:           2
        .value_kind:     hidden_group_size_y
      - .offset:         112
        .size:           2
        .value_kind:     hidden_group_size_z
      - .offset:         114
        .size:           2
        .value_kind:     hidden_remainder_x
      - .offset:         116
        .size:           2
        .value_kind:     hidden_remainder_y
      - .offset:         118
        .size:           2
        .value_kind:     hidden_remainder_z
      - .offset:         136
        .size:           8
        .value_kind:     hidden_global_offset_x
      - .offset:         144
        .size:           8
        .value_kind:     hidden_global_offset_y
      - .offset:         152
        .size:           8
        .value_kind:     hidden_global_offset_z
      - .offset:         160
        .size:           2
        .value_kind:     hidden_grid_dims
    .group_segment_fixed_size: 0
    .kernarg_segment_align: 8
    .kernarg_segment_size: 352
    .language:       OpenCL C
    .language_version:
      - 2
      - 0
    .max_flat_workgroup_size: 1024
    .name:           _ZN4vllm23rotary_embedding_kernelIN3c108BFloat16ES2_Lb0EEEvPKlPT_S6_PKT0_illliiilb
    .private_segment_fixed_size: 0
    .sgpr_count:     36
    .sgpr_spill_count: 0
    .symbol:         _ZN4vllm23rotary_embedding_kernelIN3c108BFloat16ES2_Lb0EEEvPKlPT_S6_PKT0_illliiilb.kd
    .uniform_work_group_size: 1
    .uses_dynamic_stack: false
    .vgpr_count:     16
    .vgpr_spill_count: 0
    .wavefront_size: 32
amdhsa.target:   amdgcn-amd-amdhsa--gfx1250
amdhsa.version:
  - 1
  - 2
...

	.end_amdgpu_metadata
